;; amdgpu-corpus repo=ROCm/rocFFT kind=compiled arch=gfx1030 opt=O3
	.text
	.amdgcn_target "amdgcn-amd-amdhsa--gfx1030"
	.amdhsa_code_object_version 6
	.protected	bluestein_single_back_len768_dim1_half_op_CI_CI ; -- Begin function bluestein_single_back_len768_dim1_half_op_CI_CI
	.globl	bluestein_single_back_len768_dim1_half_op_CI_CI
	.p2align	8
	.type	bluestein_single_back_len768_dim1_half_op_CI_CI,@function
bluestein_single_back_len768_dim1_half_op_CI_CI: ; @bluestein_single_back_len768_dim1_half_op_CI_CI
; %bb.0:
	s_load_dwordx4 s[12:15], s[4:5], 0x28
	v_mul_u32_u24_e32 v1, 0x556, v0
	v_mov_b32_e32 v16, 0
	s_mov_b32 s0, exec_lo
	v_lshrrev_b32_e32 v1, 16, v1
	v_add_nc_u32_e32 v15, s6, v1
	s_waitcnt lgkmcnt(0)
	v_cmpx_gt_u64_e64 s[12:13], v[15:16]
	s_cbranch_execz .LBB0_10
; %bb.1:
	s_clause 0x1
	s_load_dwordx4 s[8:11], s[4:5], 0x18
	s_load_dwordx4 s[0:3], s[4:5], 0x0
	v_mul_lo_u16 v1, v1, 48
	s_load_dwordx2 s[4:5], s[4:5], 0x38
	v_sub_nc_u16 v1, v0, v1
	v_and_b32_e32 v49, 0xffff, v1
	v_or_b32_e32 v33, 0x240, v49
	v_or_b32_e32 v43, 0xc0, v49
	;; [unrolled: 1-line block ×3, first 2 shown]
	s_waitcnt lgkmcnt(0)
	s_load_dwordx4 s[16:19], s[8:9], 0x0
	v_lshlrev_b32_e32 v47, 2, v49
	v_lshlrev_b32_e32 v18, 2, v33
	s_clause 0x6
	global_load_dword v52, v47, s[0:1]
	global_load_dword v51, v47, s[0:1] offset:192
	global_load_dword v50, v47, s[0:1] offset:384
	;; [unrolled: 1-line block ×5, first 2 shown]
	global_load_dword v36, v18, s[0:1]
	v_add_nc_u32_e32 v23, 0x600, v47
	s_waitcnt lgkmcnt(0)
	v_mad_u64_u32 v[2:3], null, s18, v15, 0
	v_mad_u64_u32 v[4:5], null, s16, v49, 0
	;; [unrolled: 1-line block ×5, first 2 shown]
	v_mov_b32_e32 v0, v3
	v_mov_b32_e32 v3, v5
	;; [unrolled: 1-line block ×3, first 2 shown]
	s_mul_i32 s6, s17, 0xc0
	v_mov_b32_e32 v7, v9
	s_mul_hi_u32 s7, s16, 0xc0
	v_mov_b32_e32 v9, v11
	v_mad_u64_u32 v[11:12], null, s19, v15, v[0:1]
	v_mad_u64_u32 v[12:13], null, s17, v49, v[3:4]
	;; [unrolled: 1-line block ×4, first 2 shown]
	v_mov_b32_e32 v3, v11
	v_mad_u64_u32 v[13:14], null, s17, v43, v[5:6]
	v_mov_b32_e32 v5, v12
	v_mov_b32_e32 v9, v16
	v_lshlrev_b64 v[2:3], 2, v[2:3]
	v_mov_b32_e32 v11, v19
	s_mul_i32 s8, s16, 0xc0
	v_lshlrev_b64 v[4:5], 2, v[4:5]
	v_lshlrev_b64 v[8:9], 2, v[8:9]
	s_add_i32 s7, s7, s6
	v_add_co_u32 v0, vcc_lo, s14, v2
	v_add_co_ci_u32_e32 v12, vcc_lo, s15, v3, vcc_lo
	v_lshlrev_b64 v[2:3], 2, v[10:11]
	v_add_co_u32 v4, vcc_lo, v0, v4
	v_add_co_ci_u32_e32 v5, vcc_lo, v12, v5, vcc_lo
	v_add_co_u32 v8, vcc_lo, v0, v8
	v_add_co_ci_u32_e32 v9, vcc_lo, v12, v9, vcc_lo
	v_add_co_u32 v2, vcc_lo, v0, v2
	v_add_co_ci_u32_e32 v3, vcc_lo, v12, v3, vcc_lo
	global_load_dword v10, v[4:5], off
	v_add_co_u32 v4, vcc_lo, v4, s8
	v_mov_b32_e32 v7, v13
	v_add_co_ci_u32_e32 v5, vcc_lo, s7, v5, vcc_lo
	s_clause 0x1
	global_load_dword v8, v[8:9], off
	global_load_dword v9, v[2:3], off
	v_add_co_u32 v2, vcc_lo, v4, s8
	v_lshlrev_b64 v[6:7], 2, v[6:7]
	v_add_co_ci_u32_e32 v3, vcc_lo, s7, v5, vcc_lo
	global_load_dword v11, v[4:5], off
	v_add_co_u32 v4, vcc_lo, v2, s8
	v_add_co_ci_u32_e32 v5, vcc_lo, s7, v3, vcc_lo
	v_add_co_u32 v6, vcc_lo, v0, v6
	s_mul_i32 s9, s17, 0x180
	s_mul_hi_u32 s12, s16, 0x180
	s_mul_i32 s6, s16, 0x180
	v_add_co_ci_u32_e32 v7, vcc_lo, v12, v7, vcc_lo
	global_load_dword v0, v[2:3], off
	s_add_i32 s12, s12, s9
	v_add_co_u32 v2, vcc_lo, v4, s6
	v_add_co_ci_u32_e32 v3, vcc_lo, s12, v5, vcc_lo
	s_clause 0x1
	global_load_dword v12, v[4:5], off
	global_load_dword v13, v[6:7], off
	v_add_co_u32 v4, vcc_lo, v2, s8
	v_add_co_ci_u32_e32 v5, vcc_lo, s7, v3, vcc_lo
	v_add_co_u32 v6, s9, s0, v47
	s_clause 0x2
	global_load_dword v45, v47, s[0:1] offset:960
	global_load_dword v44, v47, s[0:1] offset:1152
	;; [unrolled: 1-line block ×3, first 2 shown]
	global_load_dword v14, v[2:3], off
	s_clause 0x1
	global_load_dword v40, v47, s[0:1] offset:1728
	global_load_dword v39, v47, s[0:1] offset:1920
	global_load_dword v16, v[4:5], off
	v_add_co_u32 v2, vcc_lo, v4, s8
	v_add_co_ci_u32_e64 v7, null, s1, 0, s9
	v_add_co_ci_u32_e32 v3, vcc_lo, s7, v5, vcc_lo
	v_add_co_u32 v4, vcc_lo, 0x800, v6
	v_add_co_ci_u32_e32 v5, vcc_lo, 0, v7, vcc_lo
	global_load_dword v17, v[2:3], off
	v_add_co_u32 v2, vcc_lo, v2, s6
	v_add_co_ci_u32_e32 v3, vcc_lo, s12, v3, vcc_lo
	global_load_dword v37, v[4:5], off offset:64
	v_add_co_u32 v6, vcc_lo, v2, s8
	v_add_co_ci_u32_e32 v7, vcc_lo, s7, v3, vcc_lo
	global_load_dword v19, v[2:3], off
	v_add_co_u32 v2, vcc_lo, v6, s8
	v_add_co_ci_u32_e32 v3, vcc_lo, s7, v7, vcc_lo
	global_load_dword v20, v[6:7], off
	;; [unrolled: 3-line block ×4, first 2 shown]
	v_add_co_u32 v6, vcc_lo, v2, s8
	v_add_co_ci_u32_e32 v7, vcc_lo, s7, v3, vcc_lo
	global_load_dword v35, v[4:5], off offset:448
	global_load_dword v2, v[2:3], off
	global_load_dword v3, v[6:7], off
	s_clause 0x1
	global_load_dword v34, v[4:5], off offset:640
	global_load_dword v32, v[4:5], off offset:832
	v_add_nc_u32_e32 v6, 0x400, v47
	v_add_nc_u32_e32 v7, 0x800, v47
	s_load_dwordx4 s[8:11], s[10:11], 0x0
	v_cmp_gt_u16_e32 vcc_lo, 16, v1
	s_waitcnt vmcnt(24)
	v_lshrrev_b32_e32 v4, 16, v10
	v_mul_f16_sdwa v5, v52, v10 dst_sel:DWORD dst_unused:UNUSED_PAD src0_sel:WORD_1 src1_sel:DWORD
	s_waitcnt vmcnt(23)
	v_lshrrev_b32_e32 v24, 16, v8
	v_mul_f16_sdwa v25, v41, v8 dst_sel:DWORD dst_unused:UNUSED_PAD src0_sel:WORD_1 src1_sel:DWORD
	;; [unrolled: 3-line block ×3, first 2 shown]
	v_mul_f16_sdwa v28, v52, v4 dst_sel:DWORD dst_unused:UNUSED_PAD src0_sel:WORD_1 src1_sel:DWORD
	v_fma_f16 v4, v52, v4, -v5
	v_mul_f16_sdwa v30, v41, v24 dst_sel:DWORD dst_unused:UNUSED_PAD src0_sel:WORD_1 src1_sel:DWORD
	s_waitcnt vmcnt(21)
	v_lshrrev_b32_e32 v5, 16, v11
	v_mul_f16_sdwa v29, v51, v11 dst_sel:DWORD dst_unused:UNUSED_PAD src0_sel:WORD_1 src1_sel:DWORD
	v_fma_f16 v24, v41, v24, -v25
	v_mul_f16_sdwa v25, v36, v26 dst_sel:DWORD dst_unused:UNUSED_PAD src0_sel:WORD_1 src1_sel:DWORD
	v_fma_f16 v26, v36, v26, -v27
	v_fmac_f16_e32 v28, v52, v10
	v_mul_f16_sdwa v10, v51, v5 dst_sel:DWORD dst_unused:UNUSED_PAD src0_sel:WORD_1 src1_sel:DWORD
	v_fma_f16 v5, v51, v5, -v29
	v_fmac_f16_e32 v30, v41, v8
	v_fmac_f16_e32 v25, v36, v9
	v_pack_b32_f16 v4, v28, v4
	v_fmac_f16_e32 v10, v51, v11
	s_waitcnt vmcnt(20)
	v_lshrrev_b32_e32 v27, 16, v0
	v_mul_f16_sdwa v29, v50, v0 dst_sel:DWORD dst_unused:UNUSED_PAD src0_sel:WORD_1 src1_sel:DWORD
	v_pack_b32_f16 v25, v25, v26
	v_pack_b32_f16 v24, v30, v24
	;; [unrolled: 1-line block ×3, first 2 shown]
	v_mul_f16_sdwa v8, v50, v27 dst_sel:DWORD dst_unused:UNUSED_PAD src0_sel:WORD_1 src1_sel:DWORD
	v_fma_f16 v9, v50, v27, -v29
	s_waitcnt vmcnt(19)
	v_lshrrev_b32_e32 v11, 16, v12
	v_mul_f16_sdwa v27, v48, v12 dst_sel:DWORD dst_unused:UNUSED_PAD src0_sel:WORD_1 src1_sel:DWORD
	s_waitcnt vmcnt(18)
	v_lshrrev_b32_e32 v28, 16, v13
	v_mul_f16_sdwa v29, v46, v13 dst_sel:DWORD dst_unused:UNUSED_PAD src0_sel:WORD_1 src1_sel:DWORD
	v_fmac_f16_e32 v8, v50, v0
	v_mul_f16_sdwa v0, v48, v11 dst_sel:DWORD dst_unused:UNUSED_PAD src0_sel:WORD_1 src1_sel:DWORD
	v_fma_f16 v10, v48, v11, -v27
	v_mul_f16_sdwa v11, v46, v28 dst_sel:DWORD dst_unused:UNUSED_PAD src0_sel:WORD_1 src1_sel:DWORD
	s_waitcnt vmcnt(14)
	v_lshrrev_b32_e32 v27, 16, v14
	v_fma_f16 v26, v46, v28, -v29
	v_mul_f16_sdwa v28, v45, v14 dst_sel:DWORD dst_unused:UNUSED_PAD src0_sel:WORD_1 src1_sel:DWORD
	ds_write2_b32 v47, v4, v5 offset1:48
	v_pack_b32_f16 v4, v8, v9
	v_fmac_f16_e32 v0, v48, v12
	v_fmac_f16_e32 v11, v46, v13
	v_mul_f16_sdwa v5, v45, v27 dst_sel:DWORD dst_unused:UNUSED_PAD src0_sel:WORD_1 src1_sel:DWORD
	s_waitcnt vmcnt(11)
	v_lshrrev_b32_e32 v9, 16, v16
	v_mul_f16_sdwa v12, v44, v16 dst_sel:DWORD dst_unused:UNUSED_PAD src0_sel:WORD_1 src1_sel:DWORD
	v_fma_f16 v8, v45, v27, -v28
	v_pack_b32_f16 v0, v0, v10
	v_pack_b32_f16 v10, v11, v26
	v_fmac_f16_e32 v5, v45, v14
	v_mul_f16_sdwa v11, v44, v9 dst_sel:DWORD dst_unused:UNUSED_PAD src0_sel:WORD_1 src1_sel:DWORD
	v_fma_f16 v9, v44, v9, -v12
	s_waitcnt vmcnt(10)
	v_lshrrev_b32_e32 v12, 16, v17
	v_mul_f16_sdwa v13, v42, v17 dst_sel:DWORD dst_unused:UNUSED_PAD src0_sel:WORD_1 src1_sel:DWORD
	ds_write2_b32 v47, v4, v0 offset0:96 offset1:144
	v_pack_b32_f16 v0, v5, v8
	v_fmac_f16_e32 v11, v44, v16
	v_mul_f16_sdwa v4, v42, v12 dst_sel:DWORD dst_unused:UNUSED_PAD src0_sel:WORD_1 src1_sel:DWORD
	s_waitcnt vmcnt(8)
	v_lshrrev_b32_e32 v8, 16, v19
	v_fma_f16 v5, v42, v12, -v13
	v_mul_f16_sdwa v12, v40, v19 dst_sel:DWORD dst_unused:UNUSED_PAD src0_sel:WORD_1 src1_sel:DWORD
	ds_write2_b32 v47, v10, v0 offset0:192 offset1:240
	v_pack_b32_f16 v0, v11, v9
	v_fmac_f16_e32 v4, v42, v17
	v_mul_f16_sdwa v9, v40, v8 dst_sel:DWORD dst_unused:UNUSED_PAD src0_sel:WORD_1 src1_sel:DWORD
	s_waitcnt vmcnt(7)
	v_lshrrev_b32_e32 v10, 16, v20
	v_mul_f16_sdwa v11, v39, v20 dst_sel:DWORD dst_unused:UNUSED_PAD src0_sel:WORD_1 src1_sel:DWORD
	v_fma_f16 v8, v40, v8, -v12
	v_pack_b32_f16 v4, v4, v5
	v_fmac_f16_e32 v9, v40, v19
	s_waitcnt vmcnt(6)
	v_lshrrev_b32_e32 v5, 16, v21
	v_mul_f16_sdwa v12, v39, v10 dst_sel:DWORD dst_unused:UNUSED_PAD src0_sel:WORD_1 src1_sel:DWORD
	v_fma_f16 v10, v39, v10, -v11
	v_mul_f16_sdwa v11, v37, v21 dst_sel:DWORD dst_unused:UNUSED_PAD src0_sel:WORD_1 src1_sel:DWORD
	s_waitcnt vmcnt(5)
	v_lshrrev_b32_e32 v13, 16, v22
	v_pack_b32_f16 v8, v9, v8
	v_mul_f16_sdwa v9, v37, v5 dst_sel:DWORD dst_unused:UNUSED_PAD src0_sel:WORD_1 src1_sel:DWORD
	s_waitcnt vmcnt(3)
	v_lshrrev_b32_e32 v14, 16, v2
	v_fma_f16 v5, v37, v5, -v11
	v_mul_f16_sdwa v11, v35, v22 dst_sel:DWORD dst_unused:UNUSED_PAD src0_sel:WORD_1 src1_sel:DWORD
	s_waitcnt vmcnt(2)
	v_lshrrev_b32_e32 v17, 16, v3
	v_mul_f16_sdwa v16, v35, v13 dst_sel:DWORD dst_unused:UNUSED_PAD src0_sel:WORD_1 src1_sel:DWORD
	v_fmac_f16_e32 v12, v39, v20
	v_fmac_f16_e32 v9, v37, v21
	v_fma_f16 v11, v35, v13, -v11
	s_waitcnt vmcnt(1)
	v_mul_f16_sdwa v13, v34, v2 dst_sel:DWORD dst_unused:UNUSED_PAD src0_sel:WORD_1 src1_sel:DWORD
	v_mul_f16_sdwa v19, v34, v14 dst_sel:DWORD dst_unused:UNUSED_PAD src0_sel:WORD_1 src1_sel:DWORD
	s_waitcnt vmcnt(0)
	v_mul_f16_sdwa v20, v32, v3 dst_sel:DWORD dst_unused:UNUSED_PAD src0_sel:WORD_1 src1_sel:DWORD
	v_mul_f16_sdwa v21, v32, v17 dst_sel:DWORD dst_unused:UNUSED_PAD src0_sel:WORD_1 src1_sel:DWORD
	v_fmac_f16_e32 v16, v35, v22
	v_fma_f16 v13, v34, v14, -v13
	v_fmac_f16_e32 v19, v34, v2
	v_fma_f16 v2, v32, v17, -v20
	v_fmac_f16_e32 v21, v32, v3
	v_pack_b32_f16 v3, v12, v10
	v_pack_b32_f16 v5, v9, v5
	v_pack_b32_f16 v9, v16, v11
	v_pack_b32_f16 v10, v19, v13
	v_pack_b32_f16 v2, v21, v2
	ds_write2_b32 v6, v0, v4 offset0:32 offset1:80
	ds_write2_b32 v6, v24, v8 offset0:128 offset1:176
	;; [unrolled: 1-line block ×5, first 2 shown]
	s_waitcnt lgkmcnt(0)
	s_barrier
	buffer_gl0_inv
	ds_read2_b32 v[2:3], v47 offset1:48
	ds_read2_b32 v[4:5], v47 offset0:96 offset1:144
	ds_read2_b32 v[8:9], v47 offset0:192 offset1:240
	;; [unrolled: 1-line block ×7, first 2 shown]
	v_mov_b32_e32 v0, 2
	v_lshlrev_b16 v14, 4, v1
	s_waitcnt lgkmcnt(0)
	s_barrier
	buffer_gl0_inv
                                        ; kill: def $vgpr1 killed $sgpr0 killed $exec
	v_lshlrev_b32_sdwa v19, v0, v14 dst_sel:DWORD dst_unused:UNUSED_PAD src0_sel:DWORD src1_sel:WORD_0
	v_pk_add_f16 v0, v2, v12 neg_lo:[0,1] neg_hi:[0,1]
	v_pk_add_f16 v12, v8, v16 neg_lo:[0,1] neg_hi:[0,1]
	;; [unrolled: 1-line block ×8, first 2 shown]
	v_pk_fma_f16 v2, v2, 2.0, v0 op_sel_hi:[1,0,1] neg_lo:[0,0,1] neg_hi:[0,0,1]
	v_pk_fma_f16 v8, v8, 2.0, v12 op_sel_hi:[1,0,1] neg_lo:[0,0,1] neg_hi:[0,0,1]
	;; [unrolled: 1-line block ×8, first 2 shown]
	v_sub_f16_sdwa v22, v0, v12 dst_sel:DWORD dst_unused:UNUSED_PAD src0_sel:DWORD src1_sel:WORD_1
	v_lshrrev_b32_e32 v23, 16, v0
	v_sub_f16_sdwa v24, v14, v16 dst_sel:DWORD dst_unused:UNUSED_PAD src0_sel:DWORD src1_sel:WORD_1
	v_lshrrev_b32_e32 v25, 16, v14
	;; [unrolled: 2-line block ×4, first 2 shown]
	v_pk_add_f16 v8, v2, v8 neg_lo:[0,1] neg_hi:[0,1]
	v_add_f16_e32 v12, v23, v12
	v_pk_add_f16 v10, v4, v10 neg_lo:[0,1] neg_hi:[0,1]
	v_add_f16_e32 v16, v25, v16
	;; [unrolled: 2-line block ×4, first 2 shown]
	v_fmamk_f16 v30, v24, 0x39a8, v22
	v_fmamk_f16 v31, v28, 0x39a8, v26
	v_fma_f16 v20, v20, 2.0, -v28
	v_fma_f16 v13, v13, 2.0, -v26
	;; [unrolled: 1-line block ×4, first 2 shown]
	v_sub_f16_sdwa v55, v8, v10 dst_sel:DWORD dst_unused:UNUSED_PAD src0_sel:DWORD src1_sel:WORD_1
	v_lshrrev_b32_e32 v56, 16, v9
	v_sub_f16_sdwa v57, v9, v11 dst_sel:DWORD dst_unused:UNUSED_PAD src0_sel:DWORD src1_sel:WORD_1
	v_fmamk_f16 v58, v16, 0x39a8, v12
	v_fmac_f16_e32 v30, 0xb9a8, v16
	v_fmamk_f16 v59, v21, 0x39a8, v17
	v_fmac_f16_e32 v31, 0xb9a8, v21
	v_lshrrev_b32_e32 v60, 16, v8
	v_fma_f16 v14, v25, 2.0, -v16
	v_fma_f16 v16, v29, 2.0, -v21
	;; [unrolled: 1-line block ×3, first 2 shown]
	v_fmamk_f16 v25, v20, 0xb9a8, v13
	v_fma_f16 v27, v27, 2.0, -v17
	v_pk_fma_f16 v4, v4, 2.0, v10 op_sel_hi:[1,0,1] neg_lo:[0,0,1] neg_hi:[0,0,1]
	v_pk_fma_f16 v2, v2, 2.0, v8 op_sel_hi:[1,0,1] neg_lo:[0,0,1] neg_hi:[0,0,1]
	v_fmamk_f16 v23, v53, 0xb9a8, v54
	v_pk_fma_f16 v5, v5, 2.0, v11 op_sel_hi:[1,0,1] neg_lo:[0,0,1] neg_hi:[0,0,1]
	v_pk_fma_f16 v3, v3, 2.0, v9 op_sel_hi:[1,0,1] neg_lo:[0,0,1] neg_hi:[0,0,1]
	v_add_f16_e32 v11, v56, v11
	v_fmamk_f16 v29, v57, 0x39a8, v55
	v_fmac_f16_e32 v58, 0x39a8, v24
	v_fmac_f16_e32 v59, 0x39a8, v28
	v_add_f16_e32 v10, v60, v10
	v_fma_f16 v24, v8, 2.0, -v55
	v_fma_f16 v8, v9, 2.0, -v57
	v_fmamk_f16 v28, v14, 0xb9a8, v21
	v_fmac_f16_e32 v25, 0xb9a8, v16
	v_fmamk_f16 v16, v16, 0xb9a8, v27
	v_fmamk_f16 v0, v31, 0x3b64, v30
	v_fma_f16 v22, v22, 2.0, -v30
	v_fma_f16 v9, v26, 2.0, -v31
	v_fmac_f16_e32 v23, 0xb9a8, v14
	v_pk_add_f16 v4, v2, v4 neg_lo:[0,1] neg_hi:[0,1]
	v_pk_add_f16 v5, v3, v5 neg_lo:[0,1] neg_hi:[0,1]
	v_fmac_f16_e32 v29, 0xb9a8, v11
	v_fmamk_f16 v14, v59, 0x3b64, v58
	v_fmamk_f16 v26, v11, 0x39a8, v10
	v_fmac_f16_e32 v28, 0x39a8, v53
	v_fma_f16 v53, v60, 2.0, -v10
	v_fma_f16 v11, v56, 2.0, -v11
	v_fmamk_f16 v56, v8, 0xb9a8, v24
	v_fmac_f16_e32 v16, 0x39a8, v20
	v_fmac_f16_e32 v0, 0xb61f, v59
	v_fma_f16 v12, v12, 2.0, -v58
	v_fma_f16 v17, v17, 2.0, -v59
	v_fmamk_f16 v59, v9, 0xb61f, v22
	v_lshrrev_b32_e32 v20, 16, v4
	v_fmamk_f16 v62, v25, 0x361f, v23
	v_pk_fma_f16 v3, v3, 2.0, v5 op_sel_hi:[1,0,1] neg_lo:[0,0,1] neg_hi:[0,0,1]
	v_pk_fma_f16 v61, v2, 2.0, v4 op_sel_hi:[1,0,1] neg_lo:[0,0,1] neg_hi:[0,0,1]
	v_fma_f16 v54, v54, 2.0, -v23
	v_fma_f16 v13, v13, 2.0, -v25
	v_fmac_f16_e32 v14, 0x361f, v31
	v_fmac_f16_e32 v26, 0x39a8, v57
	v_fma_f16 v31, v55, 2.0, -v29
	v_fmamk_f16 v55, v11, 0xb9a8, v53
	v_fmac_f16_e32 v56, 0xb9a8, v11
	v_fma_f16 v11, v27, 2.0, -v16
	v_fma_f16 v21, v21, 2.0, -v28
	v_sub_f16_sdwa v60, v4, v5 dst_sel:DWORD dst_unused:UNUSED_PAD src0_sel:DWORD src1_sel:WORD_1
	v_fmac_f16_e32 v59, 0xbb64, v17
	v_fmamk_f16 v17, v17, 0xb61f, v12
	v_add_f16_e32 v5, v20, v5
	v_fmac_f16_e32 v62, 0xbb64, v16
	v_fmamk_f16 v16, v16, 0x361f, v28
	v_fmamk_f16 v57, v13, 0xbb64, v54
	v_pk_add_f16 v2, v61, v3 neg_lo:[0,1] neg_hi:[0,1]
	v_fma_f16 v3, v58, 2.0, -v14
	v_fma_f16 v58, v10, 2.0, -v26
	v_pack_b32_f16 v10, v29, v26
	v_fmamk_f16 v29, v11, 0xbb64, v21
	v_fma_f16 v30, v30, 2.0, -v0
	v_fma_f16 v4, v4, 2.0, -v60
	v_fmac_f16_e32 v55, 0x39a8, v8
	v_fmac_f16_e32 v17, 0x3b64, v9
	v_pack_b32_f16 v8, v60, v5
	v_fma_f16 v5, v20, 2.0, -v5
	v_fmac_f16_e32 v16, 0x3b64, v25
	v_fmac_f16_e32 v57, 0xb61f, v11
	;; [unrolled: 1-line block ×3, first 2 shown]
	v_fma_f16 v25, v24, 2.0, -v56
	v_fma_f16 v22, v22, 2.0, -v59
	;; [unrolled: 1-line block ×3, first 2 shown]
	v_pack_b32_f16 v27, v30, v3
	v_pack_b32_f16 v24, v4, v5
	v_fma_f16 v3, v12, 2.0, -v17
	v_pack_b32_f16 v5, v59, v17
	v_fma_f16 v13, v53, 2.0, -v55
	v_fma_f16 v17, v28, 2.0, -v16
	;; [unrolled: 1-line block ×3, first 2 shown]
	v_pack_b32_f16 v9, v62, v16
	v_fma_f16 v16, v21, 2.0, -v29
	v_pack_b32_f16 v11, v0, v14
	v_pack_b32_f16 v26, v31, v58
	;; [unrolled: 1-line block ×7, first 2 shown]
	v_pk_fma_f16 v20, v61, 2.0, v2 op_sel_hi:[1,0,1] neg_lo:[0,0,1] neg_hi:[0,0,1]
	v_pack_b32_f16 v21, v12, v16
	ds_write_b128 v19, v[8:11] offset:48
	ds_write_b128 v19, v[24:27] offset:16
	;; [unrolled: 1-line block ×3, first 2 shown]
	ds_write_b128 v19, v[20:23]
	s_waitcnt lgkmcnt(0)
	s_barrier
	buffer_gl0_inv
	ds_read2_b32 v[2:3], v47 offset1:48
	ds_read2_b32 v[12:13], v7 offset1:48
	ds_read2_b32 v[16:17], v6 offset0:48 offset1:96
	ds_read2_b32 v[4:5], v47 offset0:96 offset1:144
	;; [unrolled: 1-line block ×4, first 2 shown]
	ds_read2st64_b32 v[6:7], v47 offset0:3 offset1:4
	ds_read_b32 v20, v47 offset:2816
                                        ; implicit-def: $vgpr22
                                        ; implicit-def: $vgpr21
                                        ; implicit-def: $vgpr23
	s_and_saveexec_b32 s6, vcc_lo
	s_cbranch_execz .LBB0_3
; %bb.2:
	v_add_nc_u32_e32 v0, 0xc0, v47
	ds_read2st64_b32 v[0:1], v0 offset0:3 offset1:7
	ds_read_b32 v21, v47 offset:3008
	s_waitcnt lgkmcnt(1)
	v_lshrrev_b32_e32 v14, 16, v0
	v_lshrrev_b32_e32 v22, 16, v1
	s_waitcnt lgkmcnt(0)
	v_lshrrev_b32_e32 v23, 16, v21
.LBB0_3:
	s_or_b32 exec_lo, exec_lo, s6
	v_lshlrev_b32_e32 v24, 3, v49
	v_and_b32_e32 v25, 15, v49
	v_add_nc_u32_e32 v27, 0x90, v49
	v_lshrrev_b32_e32 v58, 4, v49
	v_lshrrev_b32_e32 v59, 4, v43
	v_and_b32_e32 v24, 0x78, v24
	v_lshlrev_b32_e32 v26, 3, v25
	v_lshrrev_b32_e32 v27, 4, v27
	s_waitcnt lgkmcnt(1)
	v_lshrrev_b32_e32 v29, 16, v7
	v_lshrrev_b32_e32 v30, 16, v12
	s_clause 0x4
	global_load_dword v53, v24, s[2:3]
	global_load_dword v55, v24, s[2:3] offset:2
	global_load_dword v54, v24, s[2:3] offset:4
	global_load_ushort v56, v24, s[2:3] offset:6
	global_load_ushort v57, v26, s[2:3]
	v_add_nc_u32_e32 v26, 0x60, v49
	v_add_nc_u32_e32 v24, 48, v49
	v_mul_u32_u24_e32 v58, 48, v58
	v_mul_u32_u24_e32 v59, 48, v59
	;; [unrolled: 1-line block ×3, first 2 shown]
	v_lshrrev_b32_e32 v26, 4, v26
	v_lshrrev_b32_e32 v24, 4, v24
	;; [unrolled: 1-line block ×5, first 2 shown]
	v_mul_u32_u24_e32 v26, 48, v26
	v_mul_u32_u24_e32 v24, 48, v24
	v_lshrrev_b32_e32 v68, 16, v8
	v_lshrrev_b32_e32 v70, 16, v10
	;; [unrolled: 1-line block ×3, first 2 shown]
	v_or_b32_e32 v26, v26, v25
	v_lshrrev_b32_e32 v73, 16, v11
	s_waitcnt lgkmcnt(0)
	v_lshrrev_b32_e32 v74, 16, v20
	v_or_b32_e32 v58, v58, v25
	v_or_b32_e32 v59, v59, v25
	;; [unrolled: 1-line block ×4, first 2 shown]
	v_lshlrev_b32_e32 v60, 2, v26
	v_lshrrev_b32_e32 v28, 16, v2
	v_lshlrev_b32_e32 v61, 2, v58
	v_lshlrev_b32_e32 v58, 2, v59
	;; [unrolled: 1-line block ×4, first 2 shown]
	v_lshrrev_b32_e32 v31, 16, v3
	v_lshrrev_b32_e32 v67, 16, v4
	;; [unrolled: 1-line block ×4, first 2 shown]
	s_waitcnt vmcnt(0)
	s_barrier
	buffer_gl0_inv
	v_mul_f16_sdwa v26, v29, v53 dst_sel:DWORD dst_unused:UNUSED_PAD src0_sel:DWORD src1_sel:WORD_1
	v_mul_f16_sdwa v27, v7, v53 dst_sel:DWORD dst_unused:UNUSED_PAD src0_sel:DWORD src1_sel:WORD_1
	v_lshrrev_b32_e32 v66, 16, v55
	v_mul_f16_sdwa v75, v30, v54 dst_sel:DWORD dst_unused:UNUSED_PAD src0_sel:DWORD src1_sel:WORD_1
	v_mul_f16_sdwa v76, v12, v54 dst_sel:DWORD dst_unused:UNUSED_PAD src0_sel:DWORD src1_sel:WORD_1
	;; [unrolled: 1-line block ×18, first 2 shown]
	v_mul_f16_e32 v93, v22, v55
	v_mul_f16_e32 v25, v1, v55
	;; [unrolled: 1-line block ×4, first 2 shown]
	v_fma_f16 v26, v7, v57, -v26
	v_fmac_f16_e32 v27, v29, v57
	v_fma_f16 v12, v12, v66, -v75
	v_fmac_f16_e32 v76, v30, v66
	;; [unrolled: 2-line block ×12, first 2 shown]
	v_add_f16_e32 v22, v26, v12
	v_sub_f16_e32 v23, v27, v76
	v_add_f16_e32 v29, v28, v27
	v_add_f16_e32 v27, v27, v76
	;; [unrolled: 1-line block ×7, first 2 shown]
	v_sub_f16_e32 v26, v26, v12
	v_add_f16_e32 v30, v3, v16
	v_sub_f16_e32 v65, v78, v80
	v_add_f16_e32 v64, v31, v78
	v_sub_f16_e32 v73, v82, v84
	v_add_f16_e32 v74, v67, v82
	v_add_f16_e32 v78, v10, v9
	v_sub_f16_e32 v79, v86, v88
	v_add_f16_e32 v81, v69, v86
	v_add_f16_e32 v82, v86, v88
	;; [unrolled: 1-line block ×4, first 2 shown]
	v_sub_f16_e32 v86, v90, v92
	v_add_f16_e32 v87, v72, v90
	v_add_f16_e32 v89, v90, v92
	;; [unrolled: 1-line block ×4, first 2 shown]
	v_fma_f16 v2, -0.5, v22, v2
	v_fmac_f16_e32 v28, -0.5, v27
	v_sub_f16_e32 v16, v16, v13
	v_add_f16_e32 v70, v4, v17
	v_fmac_f16_e32 v3, -0.5, v63
	v_fmac_f16_e32 v31, -0.5, v68
	v_sub_f16_e32 v17, v17, v8
	v_fma_f16 v4, -0.5, v71, v4
	v_fmac_f16_e32 v67, -0.5, v75
	v_add_f16_e32 v77, v5, v10
	v_sub_f16_e32 v10, v10, v9
	v_sub_f16_e32 v11, v11, v20
	;; [unrolled: 1-line block ×4, first 2 shown]
	v_add_f16_e32 v12, v21, v12
	v_add_f16_e32 v21, v29, v76
	v_add_f16_e32 v13, v30, v13
	v_add_f16_e32 v22, v64, v80
	v_fmac_f16_e32 v5, -0.5, v78
	v_fmac_f16_e32 v69, -0.5, v82
	v_add_f16_e32 v20, v83, v20
	v_fmac_f16_e32 v6, -0.5, v85
	v_add_f16_e32 v30, v87, v92
	v_fmac_f16_e32 v72, -0.5, v89
	v_fma_f16 v63, -0.5, v90, v0
	v_fma_f16 v64, -0.5, v93, v14
	v_fmamk_f16 v68, v23, 0x3aee, v2
	v_fmac_f16_e32 v2, 0xbaee, v23
	v_fmamk_f16 v23, v26, 0xbaee, v28
	v_fmac_f16_e32 v28, 0x3aee, v26
	v_add_f16_e32 v8, v70, v8
	v_fmamk_f16 v26, v65, 0x3aee, v3
	v_fmamk_f16 v70, v16, 0xbaee, v31
	v_fmac_f16_e32 v3, 0xbaee, v65
	v_fmac_f16_e32 v31, 0x3aee, v16
	v_add_f16_e32 v27, v74, v84
	v_fmamk_f16 v16, v73, 0x3aee, v4
	v_fmamk_f16 v71, v17, 0xbaee, v67
	v_add_f16_e32 v9, v77, v9
	v_add_f16_e32 v29, v81, v88
	v_fmac_f16_e32 v4, 0xbaee, v73
	v_fmac_f16_e32 v67, 0x3aee, v17
	v_fmamk_f16 v73, v79, 0x3aee, v5
	v_fmac_f16_e32 v5, 0xbaee, v79
	v_fmamk_f16 v74, v10, 0xbaee, v69
	;; [unrolled: 2-line block ×6, first 2 shown]
	v_fmac_f16_e32 v64, 0x3aee, v94
	v_pack_b32_f16 v11, v12, v21
	v_pack_b32_f16 v12, v13, v22
	;; [unrolled: 1-line block ×15, first 2 shown]
	ds_write2_b32 v61, v11, v20 offset1:16
	ds_write_b32 v61, v2 offset:128
	ds_write2_b32 v62, v12, v21 offset1:16
	ds_write_b32 v62, v3 offset:128
	;; [unrolled: 2-line block ×5, first 2 shown]
	s_and_saveexec_b32 s6, vcc_lo
	s_cbranch_execz .LBB0_5
; %bb.4:
	v_add_f16_e32 v2, v14, v25
	v_add_f16_e32 v0, v0, v1
	v_add_nc_u32_e32 v3, 0x800, v47
	v_add_f16_e32 v1, v2, v24
	v_add_f16_e32 v0, v0, v7
	v_perm_b32 v2, v65, v17, 0x5040100
	v_pack_b32_f16 v0, v0, v1
	v_perm_b32 v1, v64, v63, 0x5040100
	ds_write2_b32 v3, v0, v2 offset0:208 offset1:224
	ds_write_b32 v47, v1 offset:3008
.LBB0_5:
	s_or_b32 exec_lo, exec_lo, s6
	v_mad_u64_u32 v[12:13], null, v49, 60, s[2:3]
	s_waitcnt lgkmcnt(0)
	s_barrier
	buffer_gl0_inv
	v_add_nc_u32_e32 v20, 0x400, v47
	v_add_nc_u32_e32 v16, 0x600, v47
	;; [unrolled: 1-line block ×3, first 2 shown]
	s_clause 0x3
	global_load_dwordx4 v[8:11], v[12:13], off offset:128
	global_load_dwordx4 v[4:7], v[12:13], off offset:144
	;; [unrolled: 1-line block ×3, first 2 shown]
	global_load_dwordx3 v[12:14], v[12:13], off offset:176
	ds_read2_b32 v[22:23], v47 offset1:48
	ds_read2_b32 v[24:25], v47 offset0:96 offset1:144
	ds_read2_b32 v[26:27], v47 offset0:192 offset1:240
	;; [unrolled: 1-line block ×7, first 2 shown]
	v_lshlrev_b32_e32 v73, 2, v49
	s_add_u32 s2, s0, 0xc00
	s_addc_u32 s3, s1, 0
	s_waitcnt lgkmcnt(3)
	v_lshrrev_b32_e32 v82, 16, v30
	v_lshrrev_b32_e32 v75, 16, v23
	;; [unrolled: 1-line block ×9, first 2 shown]
	s_waitcnt lgkmcnt(2)
	v_lshrrev_b32_e32 v84, 16, v67
	v_lshrrev_b32_e32 v85, 16, v68
	s_waitcnt lgkmcnt(1)
	v_lshrrev_b32_e32 v86, 16, v69
	v_lshrrev_b32_e32 v87, 16, v70
	;; [unrolled: 3-line block ×3, first 2 shown]
	v_lshrrev_b32_e32 v74, 16, v22
	s_waitcnt vmcnt(3)
	v_mul_f16_sdwa v90, v75, v8 dst_sel:DWORD dst_unused:UNUSED_PAD src0_sel:DWORD src1_sel:WORD_1
	v_mul_f16_sdwa v91, v23, v8 dst_sel:DWORD dst_unused:UNUSED_PAD src0_sel:DWORD src1_sel:WORD_1
	v_mul_f16_sdwa v92, v76, v9 dst_sel:DWORD dst_unused:UNUSED_PAD src0_sel:DWORD src1_sel:WORD_1
	v_mul_f16_sdwa v93, v24, v9 dst_sel:DWORD dst_unused:UNUSED_PAD src0_sel:DWORD src1_sel:WORD_1
	v_mul_f16_sdwa v94, v77, v10 dst_sel:DWORD dst_unused:UNUSED_PAD src0_sel:DWORD src1_sel:WORD_1
	v_mul_f16_sdwa v95, v25, v10 dst_sel:DWORD dst_unused:UNUSED_PAD src0_sel:DWORD src1_sel:WORD_1
	v_mul_f16_sdwa v96, v78, v11 dst_sel:DWORD dst_unused:UNUSED_PAD src0_sel:DWORD src1_sel:WORD_1
	v_mul_f16_sdwa v97, v26, v11 dst_sel:DWORD dst_unused:UNUSED_PAD src0_sel:DWORD src1_sel:WORD_1
	s_waitcnt vmcnt(2)
	v_mul_f16_sdwa v98, v79, v4 dst_sel:DWORD dst_unused:UNUSED_PAD src0_sel:DWORD src1_sel:WORD_1
	v_mul_f16_sdwa v99, v27, v4 dst_sel:DWORD dst_unused:UNUSED_PAD src0_sel:DWORD src1_sel:WORD_1
	v_mul_f16_sdwa v100, v80, v5 dst_sel:DWORD dst_unused:UNUSED_PAD src0_sel:DWORD src1_sel:WORD_1
	v_mul_f16_sdwa v101, v28, v5 dst_sel:DWORD dst_unused:UNUSED_PAD src0_sel:DWORD src1_sel:WORD_1
	v_mul_f16_sdwa v102, v81, v6 dst_sel:DWORD dst_unused:UNUSED_PAD src0_sel:DWORD src1_sel:WORD_1
	v_mul_f16_sdwa v103, v29, v6 dst_sel:DWORD dst_unused:UNUSED_PAD src0_sel:DWORD src1_sel:WORD_1
	v_mul_f16_sdwa v104, v82, v7 dst_sel:DWORD dst_unused:UNUSED_PAD src0_sel:DWORD src1_sel:WORD_1
	v_mul_f16_sdwa v105, v30, v7 dst_sel:DWORD dst_unused:UNUSED_PAD src0_sel:DWORD src1_sel:WORD_1
	;; [unrolled: 9-line block ×3, first 2 shown]
	s_waitcnt vmcnt(0)
	v_mul_f16_sdwa v114, v87, v12 dst_sel:DWORD dst_unused:UNUSED_PAD src0_sel:DWORD src1_sel:WORD_1
	v_mul_f16_sdwa v115, v70, v12 dst_sel:DWORD dst_unused:UNUSED_PAD src0_sel:DWORD src1_sel:WORD_1
	;; [unrolled: 1-line block ×6, first 2 shown]
	v_fma_f16 v23, v23, v8, -v90
	v_fmac_f16_e32 v91, v75, v8
	v_fma_f16 v24, v24, v9, -v92
	v_fmac_f16_e32 v93, v76, v9
	;; [unrolled: 2-line block ×15, first 2 shown]
	v_sub_f16_e32 v30, v22, v30
	v_sub_f16_e32 v75, v74, v105
	;; [unrolled: 1-line block ×16, first 2 shown]
	v_fma_f16 v74, v74, 2.0, -v75
	v_fma_f16 v26, v26, 2.0, -v69
	;; [unrolled: 1-line block ×12, first 2 shown]
	v_sub_f16_e32 v76, v30, v76
	v_add_f16_e32 v69, v75, v69
	v_sub_f16_e32 v78, v67, v78
	v_add_f16_e32 v71, v77, v71
	;; [unrolled: 2-line block ×4, first 2 shown]
	v_fma_f16 v22, v22, 2.0, -v30
	v_fma_f16 v24, v24, 2.0, -v67
	;; [unrolled: 1-line block ×4, first 2 shown]
	v_sub_f16_e32 v83, v74, v83
	v_fma_f16 v30, v30, 2.0, -v76
	v_fma_f16 v75, v75, 2.0, -v69
	v_sub_f16_e32 v85, v84, v85
	v_fma_f16 v67, v67, 2.0, -v78
	v_fma_f16 v77, v77, 2.0, -v71
	;; [unrolled: 3-line block ×4, first 2 shown]
	v_fmamk_f16 v90, v78, 0x39a8, v76
	v_fmamk_f16 v91, v71, 0x39a8, v69
	v_sub_f16_e32 v26, v22, v26
	v_sub_f16_e32 v28, v24, v28
	;; [unrolled: 1-line block ×4, first 2 shown]
	v_fmamk_f16 v92, v82, 0x39a8, v80
	v_fma_f16 v74, v74, 2.0, -v83
	v_fma_f16 v84, v84, 2.0, -v85
	;; [unrolled: 1-line block ×4, first 2 shown]
	v_fmamk_f16 v94, v67, 0xb9a8, v30
	v_fmamk_f16 v95, v77, 0xb9a8, v75
	v_fmac_f16_e32 v90, 0xb9a8, v71
	v_fmac_f16_e32 v91, 0x39a8, v78
	v_fmamk_f16 v71, v68, 0xb9a8, v31
	v_fmamk_f16 v78, v81, 0xb9a8, v79
	;; [unrolled: 1-line block ×3, first 2 shown]
	v_fma_f16 v22, v22, 2.0, -v26
	v_fma_f16 v24, v24, 2.0, -v28
	;; [unrolled: 1-line block ×4, first 2 shown]
	v_sub_f16_e32 v85, v26, v85
	v_add_f16_e32 v28, v83, v28
	v_sub_f16_e32 v89, v27, v89
	v_add_f16_e32 v29, v87, v29
	v_fmac_f16_e32 v92, 0xb9a8, v72
	v_sub_f16_e32 v72, v74, v84
	v_fmac_f16_e32 v94, 0xb9a8, v77
	v_fmac_f16_e32 v95, 0x39a8, v67
	v_sub_f16_e32 v77, v86, v88
	v_fmac_f16_e32 v71, 0xb9a8, v81
	v_fmac_f16_e32 v78, 0x39a8, v68
	;; [unrolled: 1-line block ×3, first 2 shown]
	v_sub_f16_e32 v24, v22, v24
	v_sub_f16_e32 v25, v23, v25
	v_fmamk_f16 v81, v89, 0x39a8, v85
	v_fmamk_f16 v82, v29, 0x39a8, v28
	v_fma_f16 v74, v74, 2.0, -v72
	v_fma_f16 v30, v30, 2.0, -v94
	;; [unrolled: 1-line block ×16, first 2 shown]
	v_fmac_f16_e32 v81, 0xb9a8, v29
	v_fmac_f16_e32 v82, 0x39a8, v89
	v_sub_f16_e32 v29, v74, v86
	v_fmamk_f16 v86, v31, 0xbb64, v30
	v_fmamk_f16 v89, v79, 0xbb64, v75
	;; [unrolled: 1-line block ×10, first 2 shown]
	v_sub_f16_e32 v23, v22, v23
	v_fmac_f16_e32 v86, 0xb61f, v79
	v_fmac_f16_e32 v89, 0x361f, v31
	;; [unrolled: 1-line block ×6, first 2 shown]
	v_sub_f16_e32 v77, v24, v77
	v_add_f16_e32 v25, v72, v25
	v_fmac_f16_e32 v98, 0xbb64, v78
	v_fmac_f16_e32 v99, 0x3b64, v71
	;; [unrolled: 1-line block ×4, first 2 shown]
	v_fma_f16 v22, v22, 2.0, -v23
	v_fma_f16 v74, v74, 2.0, -v29
	v_pack_b32_f16 v23, v23, v29
	v_fma_f16 v29, v30, 2.0, -v86
	v_fma_f16 v30, v75, 2.0, -v89
	;; [unrolled: 1-line block ×14, first 2 shown]
	v_pack_b32_f16 v22, v22, v74
	v_pack_b32_f16 v29, v29, v30
	;; [unrolled: 1-line block ×15, first 2 shown]
	ds_write2_b32 v47, v22, v29 offset1:48
	ds_write2_b32 v47, v26, v30 offset0:96 offset1:144
	ds_write2_b32 v47, v24, v31 offset0:192 offset1:240
	ds_write2_b32 v20, v27, v28 offset0:32 offset1:80
	ds_write2_b32 v20, v23, v69 offset0:128 offset1:176
	ds_write2_b32 v16, v68, v70 offset0:96 offset1:144
	ds_write2_b32 v21, v25, v67 offset0:64 offset1:112
	ds_write2_b32 v21, v72, v77 offset0:160 offset1:208
	s_waitcnt lgkmcnt(0)
	s_barrier
	buffer_gl0_inv
	s_clause 0x2
	global_load_dword v24, v73, s[2:3]
	global_load_dword v25, v73, s[2:3] offset:192
	global_load_dword v71, v73, s[2:3] offset:384
	v_add_co_u32 v22, s0, s2, v73
	v_add_co_ci_u32_e64 v23, null, s3, 0, s0
	s_clause 0x1
	global_load_dword v72, v73, s[2:3] offset:576
	global_load_dword v74, v73, s[2:3] offset:768
	v_add_co_u32 v22, s0, 0x800, v22
	s_clause 0x1
	global_load_dword v75, v73, s[2:3] offset:960
	global_load_dword v76, v73, s[2:3] offset:1152
	v_add_co_ci_u32_e64 v23, s0, 0, v23, s0
	s_clause 0x8
	global_load_dword v77, v73, s[2:3] offset:1344
	global_load_dword v78, v73, s[2:3] offset:1536
	;; [unrolled: 1-line block ×4, first 2 shown]
	global_load_dword v80, v[22:23], off offset:64
	global_load_dword v18, v18, s[2:3]
	global_load_dword v81, v[22:23], off offset:448
	global_load_dword v82, v[22:23], off offset:640
	;; [unrolled: 1-line block ×3, first 2 shown]
	ds_read2_b32 v[22:23], v47 offset1:48
	s_waitcnt lgkmcnt(0)
	v_lshrrev_b32_e32 v26, 16, v22
	v_lshrrev_b32_e32 v27, 16, v23
	s_waitcnt vmcnt(15)
	v_mul_f16_sdwa v28, v26, v24 dst_sel:DWORD dst_unused:UNUSED_PAD src0_sel:DWORD src1_sel:WORD_1
	v_mul_f16_sdwa v29, v22, v24 dst_sel:DWORD dst_unused:UNUSED_PAD src0_sel:DWORD src1_sel:WORD_1
	s_waitcnt vmcnt(14)
	v_mul_f16_sdwa v30, v27, v25 dst_sel:DWORD dst_unused:UNUSED_PAD src0_sel:DWORD src1_sel:WORD_1
	v_mul_f16_sdwa v31, v23, v25 dst_sel:DWORD dst_unused:UNUSED_PAD src0_sel:DWORD src1_sel:WORD_1
	v_fma_f16 v22, v22, v24, -v28
	v_fmac_f16_e32 v29, v26, v24
	v_fma_f16 v23, v23, v25, -v30
	v_fmac_f16_e32 v31, v27, v25
	v_pack_b32_f16 v22, v22, v29
	v_pack_b32_f16 v23, v23, v31
	ds_write2_b32 v47, v22, v23 offset1:48
	ds_read2_b32 v[22:23], v47 offset0:96 offset1:144
	ds_read2_b32 v[24:25], v47 offset0:192 offset1:240
	;; [unrolled: 1-line block ×7, first 2 shown]
	s_waitcnt lgkmcnt(6)
	v_lshrrev_b32_e32 v84, 16, v22
	s_waitcnt vmcnt(13)
	v_mul_f16_sdwa v85, v22, v71 dst_sel:DWORD dst_unused:UNUSED_PAD src0_sel:DWORD src1_sel:WORD_1
	v_lshrrev_b32_e32 v86, 16, v23
	s_waitcnt vmcnt(12)
	v_mul_f16_sdwa v87, v23, v72 dst_sel:DWORD dst_unused:UNUSED_PAD src0_sel:DWORD src1_sel:WORD_1
	s_waitcnt lgkmcnt(5)
	v_lshrrev_b32_e32 v88, 16, v24
	s_waitcnt vmcnt(11)
	v_mul_f16_sdwa v89, v24, v74 dst_sel:DWORD dst_unused:UNUSED_PAD src0_sel:DWORD src1_sel:WORD_1
	v_lshrrev_b32_e32 v90, 16, v25
	s_waitcnt vmcnt(10)
	v_mul_f16_sdwa v91, v25, v75 dst_sel:DWORD dst_unused:UNUSED_PAD src0_sel:DWORD src1_sel:WORD_1
	;; [unrolled: 7-line block ×6, first 2 shown]
	s_waitcnt lgkmcnt(0)
	v_lshrrev_b32_e32 v108, 16, v69
	s_waitcnt vmcnt(1)
	v_mul_f16_sdwa v109, v69, v82 dst_sel:DWORD dst_unused:UNUSED_PAD src0_sel:DWORD src1_sel:WORD_1
	v_lshrrev_b32_e32 v110, 16, v70
	v_mul_f16_sdwa v112, v84, v71 dst_sel:DWORD dst_unused:UNUSED_PAD src0_sel:DWORD src1_sel:WORD_1
	v_fmac_f16_e32 v85, v84, v71
	v_mul_f16_sdwa v84, v86, v72 dst_sel:DWORD dst_unused:UNUSED_PAD src0_sel:DWORD src1_sel:WORD_1
	v_fmac_f16_e32 v87, v86, v72
	;; [unrolled: 2-line block ×7, first 2 shown]
	v_mul_f16_sdwa v96, v98, v79 dst_sel:DWORD dst_unused:UNUSED_PAD src0_sel:DWORD src1_sel:WORD_1
	s_waitcnt vmcnt(0)
	v_mul_f16_sdwa v111, v70, v83 dst_sel:DWORD dst_unused:UNUSED_PAD src0_sel:DWORD src1_sel:WORD_1
	v_fmac_f16_e32 v99, v98, v79
	v_mul_f16_sdwa v98, v100, v73 dst_sel:DWORD dst_unused:UNUSED_PAD src0_sel:DWORD src1_sel:WORD_1
	v_fmac_f16_e32 v101, v100, v73
	v_mul_f16_sdwa v100, v102, v80 dst_sel:DWORD dst_unused:UNUSED_PAD src0_sel:DWORD src1_sel:WORD_1
	v_fmac_f16_e32 v103, v102, v80
	v_mul_f16_sdwa v102, v104, v18 dst_sel:DWORD dst_unused:UNUSED_PAD src0_sel:DWORD src1_sel:WORD_1
	v_fmac_f16_e32 v105, v104, v18
	v_mul_f16_sdwa v104, v106, v81 dst_sel:DWORD dst_unused:UNUSED_PAD src0_sel:DWORD src1_sel:WORD_1
	v_fmac_f16_e32 v107, v106, v81
	v_mul_f16_sdwa v106, v108, v82 dst_sel:DWORD dst_unused:UNUSED_PAD src0_sel:DWORD src1_sel:WORD_1
	v_fmac_f16_e32 v109, v108, v82
	v_mul_f16_sdwa v108, v110, v83 dst_sel:DWORD dst_unused:UNUSED_PAD src0_sel:DWORD src1_sel:WORD_1
	v_fma_f16 v22, v22, v71, -v112
	v_fma_f16 v23, v23, v72, -v84
	;; [unrolled: 1-line block ×8, first 2 shown]
	v_fmac_f16_e32 v111, v110, v83
	v_fma_f16 v30, v30, v73, -v98
	v_fma_f16 v31, v31, v80, -v100
	;; [unrolled: 1-line block ×6, first 2 shown]
	v_pack_b32_f16 v22, v22, v85
	v_pack_b32_f16 v23, v23, v87
	;; [unrolled: 1-line block ×14, first 2 shown]
	ds_write2_b32 v47, v22, v23 offset0:96 offset1:144
	ds_write2_b32 v47, v24, v25 offset0:192 offset1:240
	;; [unrolled: 1-line block ×7, first 2 shown]
	s_waitcnt lgkmcnt(0)
	s_barrier
	buffer_gl0_inv
	ds_read2_b32 v[22:23], v47 offset1:48
	ds_read2_b32 v[24:25], v47 offset0:96 offset1:144
	ds_read2_b32 v[26:27], v47 offset0:192 offset1:240
	;; [unrolled: 1-line block ×7, first 2 shown]
	s_waitcnt lgkmcnt(0)
	s_barrier
	buffer_gl0_inv
	v_pk_add_f16 v16, v22, v30 neg_lo:[0,1] neg_hi:[0,1]
	v_pk_add_f16 v18, v26, v67 neg_lo:[0,1] neg_hi:[0,1]
	v_pk_add_f16 v30, v24, v69 neg_lo:[0,1] neg_hi:[0,1]
	v_pk_add_f16 v67, v28, v71 neg_lo:[0,1] neg_hi:[0,1]
	v_pk_add_f16 v31, v23, v31 neg_lo:[0,1] neg_hi:[0,1]
	v_pk_add_f16 v68, v27, v68 neg_lo:[0,1] neg_hi:[0,1]
	v_pk_add_f16 v69, v25, v70 neg_lo:[0,1] neg_hi:[0,1]
	v_pk_add_f16 v70, v29, v72 neg_lo:[0,1] neg_hi:[0,1]
	v_pk_fma_f16 v22, v22, 2.0, v16 op_sel_hi:[1,0,1] neg_lo:[0,0,1] neg_hi:[0,0,1]
	v_pk_fma_f16 v26, v26, 2.0, v18 op_sel_hi:[1,0,1] neg_lo:[0,0,1] neg_hi:[0,0,1]
	;; [unrolled: 1-line block ×8, first 2 shown]
	v_add_f16_sdwa v71, v16, v18 dst_sel:DWORD dst_unused:UNUSED_PAD src0_sel:DWORD src1_sel:WORD_1
	v_lshrrev_b32_e32 v72, 16, v16
	v_add_f16_sdwa v73, v30, v67 dst_sel:DWORD dst_unused:UNUSED_PAD src0_sel:DWORD src1_sel:WORD_1
	v_lshrrev_b32_e32 v74, 16, v30
	v_lshrrev_b32_e32 v76, 16, v31
	;; [unrolled: 1-line block ×3, first 2 shown]
	v_add_f16_sdwa v75, v31, v68 dst_sel:DWORD dst_unused:UNUSED_PAD src0_sel:DWORD src1_sel:WORD_1
	v_add_f16_sdwa v77, v69, v70 dst_sel:DWORD dst_unused:UNUSED_PAD src0_sel:DWORD src1_sel:WORD_1
	v_pk_add_f16 v26, v22, v26 neg_lo:[0,1] neg_hi:[0,1]
	v_sub_f16_e32 v18, v72, v18
	v_fma_f16 v79, v16, 2.0, -v71
	v_pk_add_f16 v16, v24, v28 neg_lo:[0,1] neg_hi:[0,1]
	v_sub_f16_e32 v28, v74, v67
	v_fma_f16 v30, v30, 2.0, -v73
	v_pk_add_f16 v27, v23, v27 neg_lo:[0,1] neg_hi:[0,1]
	v_sub_f16_e32 v67, v76, v68
	v_pk_add_f16 v29, v25, v29 neg_lo:[0,1] neg_hi:[0,1]
	v_sub_f16_e32 v68, v78, v70
	v_fma_f16 v31, v31, 2.0, -v75
	v_fma_f16 v69, v69, 2.0, -v77
	v_fmamk_f16 v70, v73, 0x39a8, v71
	v_fmamk_f16 v80, v77, 0x39a8, v75
	v_pk_fma_f16 v22, v22, 2.0, v26 op_sel_hi:[1,0,1] neg_lo:[0,0,1] neg_hi:[0,0,1]
	v_fma_f16 v72, v72, 2.0, -v18
	v_pk_fma_f16 v24, v24, 2.0, v16 op_sel_hi:[1,0,1] neg_lo:[0,0,1] neg_hi:[0,0,1]
	v_fma_f16 v74, v74, 2.0, -v28
	;; [unrolled: 2-line block ×4, first 2 shown]
	v_fmamk_f16 v81, v30, 0xb9a8, v79
	v_add_f16_sdwa v82, v26, v16 dst_sel:DWORD dst_unused:UNUSED_PAD src0_sel:DWORD src1_sel:WORD_1
	v_lshrrev_b32_e32 v83, 16, v26
	v_fmamk_f16 v84, v28, 0x39a8, v18
	v_fmac_f16_e32 v70, 0x39a8, v28
	v_fmamk_f16 v28, v69, 0xb9a8, v31
	v_add_f16_sdwa v85, v27, v29 dst_sel:DWORD dst_unused:UNUSED_PAD src0_sel:DWORD src1_sel:WORD_1
	v_lshrrev_b32_e32 v86, 16, v27
	v_fmamk_f16 v87, v68, 0x39a8, v67
	v_fmac_f16_e32 v80, 0x39a8, v68
	v_pk_add_f16 v24, v22, v24 neg_lo:[0,1] neg_hi:[0,1]
	v_fmamk_f16 v88, v74, 0xb9a8, v72
	v_fmac_f16_e32 v81, 0x39a8, v74
	v_fma_f16 v74, v26, 2.0, -v82
	v_pk_add_f16 v25, v23, v25 neg_lo:[0,1] neg_hi:[0,1]
	v_fmamk_f16 v26, v78, 0xb9a8, v76
	v_sub_f16_e32 v68, v83, v16
	v_fmac_f16_e32 v84, 0xb9a8, v73
	v_fma_f16 v71, v71, 2.0, -v70
	v_fmac_f16_e32 v28, 0x39a8, v78
	v_sub_f16_e32 v29, v86, v29
	v_fma_f16 v27, v27, 2.0, -v85
	v_fmac_f16_e32 v87, 0xb9a8, v77
	v_fma_f16 v73, v75, 2.0, -v80
	v_fmamk_f16 v75, v85, 0x39a8, v82
	v_pk_fma_f16 v77, v22, 2.0, v24 op_sel_hi:[1,0,1] neg_lo:[0,0,1] neg_hi:[0,0,1]
	v_fmac_f16_e32 v88, 0xb9a8, v30
	v_pk_fma_f16 v22, v23, 2.0, v25 op_sel_hi:[1,0,1] neg_lo:[0,0,1] neg_hi:[0,0,1]
	v_fmac_f16_e32 v26, 0xb9a8, v69
	v_fmamk_f16 v16, v80, 0x3b64, v70
	v_fma_f16 v30, v79, 2.0, -v81
	v_fma_f16 v78, v83, 2.0, -v68
	;; [unrolled: 1-line block ×6, first 2 shown]
	v_fmamk_f16 v79, v27, 0xb9a8, v74
	v_fmamk_f16 v83, v73, 0xb61f, v71
	;; [unrolled: 1-line block ×4, first 2 shown]
	v_fmac_f16_e32 v75, 0x39a8, v29
	v_fma_f16 v29, v72, 2.0, -v88
	v_fma_f16 v72, v76, 2.0, -v26
	v_pk_add_f16 v22, v77, v22 neg_lo:[0,1] neg_hi:[0,1]
	v_lshrrev_b32_e32 v89, 16, v24
	v_fmamk_f16 v67, v87, 0x3b64, v84
	v_fmac_f16_e32 v16, 0x361f, v87
	v_fmamk_f16 v87, v31, 0xb9a8, v78
	v_fmac_f16_e32 v79, 0x39a8, v31
	;; [unrolled: 2-line block ×3, first 2 shown]
	v_fmamk_f16 v69, v26, 0x361f, v88
	v_fmamk_f16 v76, v23, 0xbb64, v30
	v_fmac_f16_e32 v90, 0x3b64, v26
	v_pk_fma_f16 v26, v77, 2.0, v22 op_sel_hi:[1,0,1] neg_lo:[0,0,1] neg_hi:[0,0,1]
	v_fmamk_f16 v77, v72, 0xbb64, v29
	v_add_f16_sdwa v86, v24, v25 dst_sel:DWORD dst_unused:UNUSED_PAD src0_sel:DWORD src1_sel:WORD_1
	v_sub_f16_e32 v25, v89, v25
	v_fmac_f16_e32 v91, 0xb9a8, v85
	v_fmac_f16_e32 v67, 0xb61f, v80
	;; [unrolled: 1-line block ×7, first 2 shown]
	v_fma_f16 v24, v24, 2.0, -v86
	v_fma_f16 v82, v82, 2.0, -v75
	;; [unrolled: 1-line block ×12, first 2 shown]
	v_pack_b32_f16 v68, v86, v25
	v_fma_f16 v30, v30, 2.0, -v76
	v_pack_b32_f16 v25, v83, v31
	v_fma_f16 v31, v29, 2.0, -v77
	v_pack_b32_f16 v71, v16, v67
	v_pack_b32_f16 v70, v75, v91
	;; [unrolled: 1-line block ×12, first 2 shown]
	ds_write_b128 v19, v[68:71] offset:48
	ds_write_b128 v19, v[72:75] offset:16
	;; [unrolled: 1-line block ×3, first 2 shown]
	ds_write_b128 v19, v[26:29]
	s_waitcnt lgkmcnt(0)
	s_barrier
	buffer_gl0_inv
	ds_read2_b32 v[22:23], v47 offset1:48
	ds_read2_b32 v[30:31], v21 offset1:48
	ds_read2_b32 v[28:29], v20 offset0:48 offset1:96
	ds_read2_b32 v[18:19], v47 offset0:96 offset1:144
	ds_read2_b32 v[26:27], v21 offset0:96 offset1:144
	ds_read2_b32 v[24:25], v20 offset0:144 offset1:192
	ds_read2st64_b32 v[20:21], v47 offset0:3 offset1:4
	ds_read_b32 v68, v47 offset:2816
	s_and_saveexec_b32 s0, vcc_lo
	s_cbranch_execz .LBB0_7
; %bb.6:
	v_add_nc_u32_e32 v16, 0xc0, v47
	ds_read2st64_b32 v[16:17], v16 offset0:3 offset1:7
	ds_read_b32 v63, v47 offset:3008
	s_waitcnt lgkmcnt(1)
	v_lshrrev_b32_e32 v67, 16, v16
	v_lshrrev_b32_e32 v65, 16, v17
	s_waitcnt lgkmcnt(0)
	v_lshrrev_b32_e32 v64, 16, v63
.LBB0_7:
	s_or_b32 exec_lo, exec_lo, s0
	s_waitcnt lgkmcnt(1)
	v_lshrrev_b32_e32 v70, 16, v21
	v_lshrrev_b32_e32 v71, 16, v30
	;; [unrolled: 1-line block ×3, first 2 shown]
	v_mul_f16_sdwa v84, v53, v21 dst_sel:DWORD dst_unused:UNUSED_PAD src0_sel:WORD_1 src1_sel:DWORD
	v_lshrrev_b32_e32 v74, 16, v31
	v_mul_f16_sdwa v82, v53, v70 dst_sel:DWORD dst_unused:UNUSED_PAD src0_sel:WORD_1 src1_sel:DWORD
	v_mul_f16_sdwa v86, v54, v71 dst_sel:DWORD dst_unused:UNUSED_PAD src0_sel:WORD_1 src1_sel:DWORD
	v_lshrrev_b32_e32 v76, 16, v29
	v_fma_f16 v70, v57, v70, -v84
	v_mul_f16_sdwa v84, v53, v73 dst_sel:DWORD dst_unused:UNUSED_PAD src0_sel:WORD_1 src1_sel:DWORD
	v_fmac_f16_e32 v82, v57, v21
	v_mul_f16_sdwa v21, v54, v30 dst_sel:DWORD dst_unused:UNUSED_PAD src0_sel:WORD_1 src1_sel:DWORD
	v_fmac_f16_e32 v86, v66, v30
	v_mul_f16_sdwa v30, v53, v28 dst_sel:DWORD dst_unused:UNUSED_PAD src0_sel:WORD_1 src1_sel:DWORD
	v_lshrrev_b32_e32 v77, 16, v26
	v_fmac_f16_e32 v84, v57, v28
	v_fma_f16 v21, v66, v71, -v21
	v_mul_f16_sdwa v71, v54, v74 dst_sel:DWORD dst_unused:UNUSED_PAD src0_sel:WORD_1 src1_sel:DWORD
	v_mul_f16_sdwa v28, v54, v31 dst_sel:DWORD dst_unused:UNUSED_PAD src0_sel:WORD_1 src1_sel:DWORD
	v_fma_f16 v30, v57, v73, -v30
	v_mul_f16_sdwa v73, v53, v76 dst_sel:DWORD dst_unused:UNUSED_PAD src0_sel:WORD_1 src1_sel:DWORD
	v_lshrrev_b32_e32 v79, 16, v24
	v_fmac_f16_e32 v71, v66, v31
	v_mul_f16_sdwa v31, v53, v29 dst_sel:DWORD dst_unused:UNUSED_PAD src0_sel:WORD_1 src1_sel:DWORD
	v_fma_f16 v28, v66, v74, -v28
	v_mul_f16_sdwa v74, v54, v77 dst_sel:DWORD dst_unused:UNUSED_PAD src0_sel:WORD_1 src1_sel:DWORD
	v_lshrrev_b32_e32 v80, 16, v27
	v_fmac_f16_e32 v73, v57, v29
	v_mul_f16_sdwa v29, v54, v26 dst_sel:DWORD dst_unused:UNUSED_PAD src0_sel:WORD_1 src1_sel:DWORD
	v_lshrrev_b32_e32 v83, 16, v25
	v_fma_f16 v31, v57, v76, -v31
	v_mul_f16_sdwa v76, v53, v79 dst_sel:DWORD dst_unused:UNUSED_PAD src0_sel:WORD_1 src1_sel:DWORD
	v_fmac_f16_e32 v74, v66, v26
	v_mul_f16_sdwa v26, v53, v24 dst_sel:DWORD dst_unused:UNUSED_PAD src0_sel:WORD_1 src1_sel:DWORD
	v_fma_f16 v29, v66, v77, -v29
	v_mul_f16_sdwa v77, v54, v80 dst_sel:DWORD dst_unused:UNUSED_PAD src0_sel:WORD_1 src1_sel:DWORD
	s_waitcnt lgkmcnt(0)
	v_lshrrev_b32_e32 v85, 16, v68
	v_fmac_f16_e32 v76, v57, v24
	v_mul_f16_sdwa v24, v54, v27 dst_sel:DWORD dst_unused:UNUSED_PAD src0_sel:WORD_1 src1_sel:DWORD
	v_fma_f16 v26, v57, v79, -v26
	v_mul_f16_sdwa v79, v53, v83 dst_sel:DWORD dst_unused:UNUSED_PAD src0_sel:WORD_1 src1_sel:DWORD
	v_fmac_f16_e32 v77, v66, v27
	v_mul_f16_sdwa v27, v53, v25 dst_sel:DWORD dst_unused:UNUSED_PAD src0_sel:WORD_1 src1_sel:DWORD
	v_fma_f16 v24, v66, v80, -v24
	v_mul_f16_sdwa v80, v54, v85 dst_sel:DWORD dst_unused:UNUSED_PAD src0_sel:WORD_1 src1_sel:DWORD
	v_fmac_f16_e32 v79, v57, v25
	v_mul_f16_sdwa v25, v54, v68 dst_sel:DWORD dst_unused:UNUSED_PAD src0_sel:WORD_1 src1_sel:DWORD
	v_fma_f16 v27, v57, v83, -v27
	v_add_f16_e32 v57, v82, v86
	v_lshrrev_b32_e32 v69, 16, v22
	v_fmac_f16_e32 v80, v66, v68
	v_fma_f16 v25, v66, v85, -v25
	v_add_f16_e32 v66, v70, v21
	v_add_f16_e32 v68, v22, v82
	v_fma_f16 v22, -0.5, v57, v22
	v_sub_f16_e32 v57, v70, v21
	v_add_f16_e32 v70, v69, v70
	v_fmac_f16_e32 v69, -0.5, v66
	v_sub_f16_e32 v66, v82, v86
	v_lshrrev_b32_e32 v72, 16, v23
	v_fmamk_f16 v82, v57, 0xbaee, v22
	v_fmac_f16_e32 v22, 0x3aee, v57
	v_add_f16_e32 v57, v84, v71
	v_add_f16_e32 v21, v70, v21
	v_fmamk_f16 v70, v66, 0x3aee, v69
	v_fmac_f16_e32 v69, 0xbaee, v66
	v_add_f16_e32 v66, v30, v28
	v_add_f16_e32 v83, v23, v84
	v_fmac_f16_e32 v23, -0.5, v57
	v_sub_f16_e32 v57, v30, v28
	v_add_f16_e32 v30, v72, v30
	v_fmac_f16_e32 v72, -0.5, v66
	v_sub_f16_e32 v66, v84, v71
	v_lshrrev_b32_e32 v75, 16, v18
	v_add_f16_e32 v83, v83, v71
	v_add_f16_e32 v28, v30, v28
	;; [unrolled: 1-line block ×3, first 2 shown]
	v_fmamk_f16 v71, v57, 0xbaee, v23
	v_fmac_f16_e32 v23, 0x3aee, v57
	v_fmamk_f16 v57, v66, 0x3aee, v72
	v_fmac_f16_e32 v72, 0xbaee, v66
	v_add_f16_e32 v66, v31, v29
	v_add_f16_e32 v84, v18, v73
	v_fma_f16 v18, -0.5, v30, v18
	v_sub_f16_e32 v30, v31, v29
	v_add_f16_e32 v31, v75, v31
	v_fmac_f16_e32 v75, -0.5, v66
	v_sub_f16_e32 v66, v73, v74
	v_lshrrev_b32_e32 v78, 16, v19
	v_fmamk_f16 v73, v30, 0xbaee, v18
	v_fmac_f16_e32 v18, 0x3aee, v30
	v_add_f16_e32 v30, v76, v77
	v_add_f16_e32 v29, v31, v29
	v_fmamk_f16 v31, v66, 0x3aee, v75
	v_fmac_f16_e32 v75, 0xbaee, v66
	v_add_f16_e32 v66, v26, v24
	v_add_f16_e32 v84, v84, v74
	;; [unrolled: 1-line block ×3, first 2 shown]
	v_fmac_f16_e32 v19, -0.5, v30
	v_sub_f16_e32 v30, v26, v24
	v_add_f16_e32 v26, v78, v26
	v_fmac_f16_e32 v78, -0.5, v66
	v_sub_f16_e32 v66, v76, v77
	v_lshrrev_b32_e32 v81, 16, v20
	v_fmamk_f16 v76, v30, 0xbaee, v19
	v_add_f16_e32 v24, v26, v24
	v_add_f16_e32 v26, v79, v80
	v_fmac_f16_e32 v19, 0x3aee, v30
	v_fmamk_f16 v30, v66, 0x3aee, v78
	v_fmac_f16_e32 v78, 0xbaee, v66
	v_add_f16_e32 v66, v27, v25
	v_add_f16_e32 v68, v68, v86
	;; [unrolled: 1-line block ×4, first 2 shown]
	v_fmac_f16_e32 v20, -0.5, v26
	v_sub_f16_e32 v26, v27, v25
	v_add_f16_e32 v27, v81, v27
	v_fmac_f16_e32 v81, -0.5, v66
	v_sub_f16_e32 v66, v79, v80
	v_pack_b32_f16 v21, v68, v21
	v_pack_b32_f16 v22, v22, v69
	v_add_f16_e32 v25, v27, v25
	v_pack_b32_f16 v27, v82, v70
	v_add_f16_e32 v77, v77, v80
	v_fmamk_f16 v79, v26, 0xbaee, v20
	v_fmac_f16_e32 v20, 0x3aee, v26
	v_fmamk_f16 v26, v66, 0x3aee, v81
	v_pack_b32_f16 v28, v83, v28
	v_pack_b32_f16 v57, v71, v57
	v_fmac_f16_e32 v81, 0xbaee, v66
	v_pack_b32_f16 v23, v23, v72
	v_pack_b32_f16 v29, v84, v29
	;; [unrolled: 1-line block ×4, first 2 shown]
	s_barrier
	buffer_gl0_inv
	ds_write2_b32 v61, v21, v27 offset1:16
	ds_write_b32 v61, v22 offset:128
	ds_write2_b32 v62, v28, v57 offset1:16
	ds_write_b32 v62, v23 offset:128
	ds_write2_b32 v60, v29, v31 offset1:16
	v_pack_b32_f16 v21, v74, v24
	v_pack_b32_f16 v22, v76, v30
	;; [unrolled: 1-line block ×6, first 2 shown]
	ds_write_b32 v60, v18 offset:128
	ds_write2_b32 v59, v21, v22 offset1:16
	ds_write_b32 v59, v19 offset:128
	ds_write2_b32 v58, v23, v24 offset1:16
	ds_write_b32 v58, v20 offset:128
	s_and_saveexec_b32 s0, vcc_lo
	s_cbranch_execz .LBB0_9
; %bb.8:
	v_mul_f16_e32 v18, v56, v63
	v_mul_f16_e32 v19, v55, v17
	;; [unrolled: 1-line block ×4, first 2 shown]
	v_fma_f16 v18, v54, v64, -v18
	v_fma_f16 v19, v53, v65, -v19
	v_fmac_f16_e32 v20, v53, v17
	v_fmac_f16_e32 v21, v54, v63
	v_add_f16_e32 v17, v19, v18
	v_add_f16_e32 v22, v19, v67
	;; [unrolled: 1-line block ×4, first 2 shown]
	v_sub_f16_e32 v20, v20, v21
	v_fmac_f16_e32 v67, -0.5, v17
	v_sub_f16_e32 v17, v19, v18
	v_fmac_f16_e32 v16, -0.5, v23
	v_add_f16_e32 v18, v18, v22
	v_add_f16_e32 v19, v24, v21
	v_fmamk_f16 v21, v20, 0xbaee, v67
	v_fmac_f16_e32 v67, 0x3aee, v20
	v_fmamk_f16 v20, v17, 0x3aee, v16
	v_fmac_f16_e32 v16, 0xbaee, v17
	v_add_nc_u32_e32 v17, 0x800, v47
	v_pack_b32_f16 v18, v19, v18
	v_pack_b32_f16 v19, v20, v21
	;; [unrolled: 1-line block ×3, first 2 shown]
	ds_write2_b32 v17, v18, v16 offset0:208 offset1:224
	ds_write_b32 v47, v19 offset:3008
.LBB0_9:
	s_or_b32 exec_lo, exec_lo, s0
	s_waitcnt lgkmcnt(0)
	s_barrier
	buffer_gl0_inv
	ds_read2_b32 v[19:20], v47 offset1:48
	ds_read2_b32 v[21:22], v47 offset0:96 offset1:144
	ds_read2_b32 v[23:24], v47 offset0:192 offset1:240
	v_add_nc_u32_e32 v18, 0x400, v47
	v_add_nc_u32_e32 v17, 0x600, v47
	;; [unrolled: 1-line block ×3, first 2 shown]
	s_mov_b32 s2, 0x55555555
	s_mov_b32 s3, 0x3f555555
	ds_read2_b32 v[25:26], v18 offset0:32 offset1:80
	ds_read2_b32 v[27:28], v18 offset0:128 offset1:176
	;; [unrolled: 1-line block ×5, first 2 shown]
	s_mul_hi_u32 s6, s8, 0x180
	s_mul_i32 s7, s8, 0x180
	s_waitcnt lgkmcnt(6)
	v_lshrrev_b32_e32 v58, 16, v21
	v_lshrrev_b32_e32 v57, 16, v20
	;; [unrolled: 1-line block ×3, first 2 shown]
	s_waitcnt lgkmcnt(5)
	v_lshrrev_b32_e32 v60, 16, v23
	v_mul_f16_sdwa v73, v8, v20 dst_sel:DWORD dst_unused:UNUSED_PAD src0_sel:WORD_1 src1_sel:DWORD
	v_lshrrev_b32_e32 v61, 16, v24
	v_mul_f16_sdwa v69, v8, v57 dst_sel:DWORD dst_unused:UNUSED_PAD src0_sel:WORD_1 src1_sel:DWORD
	v_mul_f16_sdwa v75, v10, v59 dst_sel:DWORD dst_unused:UNUSED_PAD src0_sel:WORD_1 src1_sel:DWORD
	s_waitcnt lgkmcnt(4)
	v_lshrrev_b32_e32 v62, 16, v25
	v_mul_f16_sdwa v74, v9, v21 dst_sel:DWORD dst_unused:UNUSED_PAD src0_sel:WORD_1 src1_sel:DWORD
	v_lshrrev_b32_e32 v63, 16, v26
	v_fmac_f16_e32 v69, v8, v20
	v_mul_f16_sdwa v20, v9, v58 dst_sel:DWORD dst_unused:UNUSED_PAD src0_sel:WORD_1 src1_sel:DWORD
	v_fma_f16 v8, v8, v57, -v73
	v_mul_f16_sdwa v57, v10, v22 dst_sel:DWORD dst_unused:UNUSED_PAD src0_sel:WORD_1 src1_sel:DWORD
	v_fmac_f16_e32 v75, v10, v22
	v_mul_f16_sdwa v22, v11, v23 dst_sel:DWORD dst_unused:UNUSED_PAD src0_sel:WORD_1 src1_sel:DWORD
	v_fmac_f16_e32 v20, v9, v21
	v_mul_f16_sdwa v21, v11, v60 dst_sel:DWORD dst_unused:UNUSED_PAD src0_sel:WORD_1 src1_sel:DWORD
	s_waitcnt lgkmcnt(3)
	v_lshrrev_b32_e32 v64, 16, v27
	v_fma_f16 v9, v9, v58, -v74
	v_fma_f16 v10, v10, v59, -v57
	v_mul_f16_sdwa v57, v4, v61 dst_sel:DWORD dst_unused:UNUSED_PAD src0_sel:WORD_1 src1_sel:DWORD
	v_mul_f16_sdwa v58, v4, v24 dst_sel:DWORD dst_unused:UNUSED_PAD src0_sel:WORD_1 src1_sel:DWORD
	v_fmac_f16_e32 v21, v11, v23
	v_mul_f16_sdwa v23, v5, v62 dst_sel:DWORD dst_unused:UNUSED_PAD src0_sel:WORD_1 src1_sel:DWORD
	v_fma_f16 v11, v11, v60, -v22
	v_mul_f16_sdwa v22, v5, v25 dst_sel:DWORD dst_unused:UNUSED_PAD src0_sel:WORD_1 src1_sel:DWORD
	v_lshrrev_b32_e32 v65, 16, v28
	v_fmac_f16_e32 v57, v4, v24
	v_fma_f16 v4, v4, v61, -v58
	v_fmac_f16_e32 v23, v5, v25
	v_mul_f16_sdwa v24, v6, v63 dst_sel:DWORD dst_unused:UNUSED_PAD src0_sel:WORD_1 src1_sel:DWORD
	v_mul_f16_sdwa v25, v6, v26 dst_sel:DWORD dst_unused:UNUSED_PAD src0_sel:WORD_1 src1_sel:DWORD
	;; [unrolled: 1-line block ×3, first 2 shown]
	v_fma_f16 v5, v5, v62, -v22
	v_mul_f16_sdwa v22, v7, v27 dst_sel:DWORD dst_unused:UNUSED_PAD src0_sel:WORD_1 src1_sel:DWORD
	s_waitcnt lgkmcnt(2)
	v_lshrrev_b32_e32 v66, 16, v29
	v_lshrrev_b32_e32 v67, 16, v30
	v_fmac_f16_e32 v24, v6, v26
	v_fma_f16 v6, v6, v63, -v25
	v_fmac_f16_e32 v58, v7, v27
	v_mul_f16_sdwa v25, v0, v65 dst_sel:DWORD dst_unused:UNUSED_PAD src0_sel:WORD_1 src1_sel:DWORD
	v_fma_f16 v7, v7, v64, -v22
	v_mul_f16_sdwa v22, v0, v28 dst_sel:DWORD dst_unused:UNUSED_PAD src0_sel:WORD_1 src1_sel:DWORD
	s_waitcnt lgkmcnt(1)
	v_lshrrev_b32_e32 v68, 16, v53
	v_lshrrev_b32_e32 v70, 16, v54
	v_mul_f16_sdwa v26, v1, v66 dst_sel:DWORD dst_unused:UNUSED_PAD src0_sel:WORD_1 src1_sel:DWORD
	v_mul_f16_sdwa v27, v1, v29 dst_sel:DWORD dst_unused:UNUSED_PAD src0_sel:WORD_1 src1_sel:DWORD
	v_fmac_f16_e32 v25, v0, v28
	v_mul_f16_sdwa v28, v2, v67 dst_sel:DWORD dst_unused:UNUSED_PAD src0_sel:WORD_1 src1_sel:DWORD
	v_fma_f16 v0, v0, v65, -v22
	v_mul_f16_sdwa v22, v2, v30 dst_sel:DWORD dst_unused:UNUSED_PAD src0_sel:WORD_1 src1_sel:DWORD
	s_waitcnt lgkmcnt(0)
	v_lshrrev_b32_e32 v71, 16, v55
	v_fmac_f16_e32 v26, v1, v29
	v_fma_f16 v1, v1, v66, -v27
	v_fmac_f16_e32 v28, v2, v30
	v_mul_f16_sdwa v27, v3, v68 dst_sel:DWORD dst_unused:UNUSED_PAD src0_sel:WORD_1 src1_sel:DWORD
	v_mul_f16_sdwa v29, v3, v53 dst_sel:DWORD dst_unused:UNUSED_PAD src0_sel:WORD_1 src1_sel:DWORD
	;; [unrolled: 1-line block ×3, first 2 shown]
	v_fma_f16 v2, v2, v67, -v22
	v_mul_f16_sdwa v22, v12, v54 dst_sel:DWORD dst_unused:UNUSED_PAD src0_sel:WORD_1 src1_sel:DWORD
	v_fmac_f16_e32 v27, v3, v53
	v_fma_f16 v3, v3, v68, -v29
	v_fmac_f16_e32 v30, v12, v54
	v_mul_f16_sdwa v29, v13, v71 dst_sel:DWORD dst_unused:UNUSED_PAD src0_sel:WORD_1 src1_sel:DWORD
	v_fma_f16 v12, v12, v70, -v22
	v_mul_f16_sdwa v22, v13, v55 dst_sel:DWORD dst_unused:UNUSED_PAD src0_sel:WORD_1 src1_sel:DWORD
	v_lshrrev_b32_e32 v31, 16, v19
	v_lshrrev_b32_e32 v72, 16, v56
	v_fmac_f16_e32 v29, v13, v55
	v_sub_f16_e32 v55, v19, v58
	v_fma_f16 v13, v13, v71, -v22
	v_sub_f16_e32 v7, v31, v7
	v_sub_f16_e32 v22, v21, v27
	;; [unrolled: 1-line block ×7, first 2 shown]
	v_mul_f16_sdwa v53, v14, v72 dst_sel:DWORD dst_unused:UNUSED_PAD src0_sel:WORD_1 src1_sel:DWORD
	v_mul_f16_sdwa v54, v14, v56 dst_sel:DWORD dst_unused:UNUSED_PAD src0_sel:WORD_1 src1_sel:DWORD
	v_fma_f16 v19, v19, 2.0, -v55
	v_fma_f16 v27, v31, 2.0, -v7
	;; [unrolled: 1-line block ×8, first 2 shown]
	v_add_f16_e32 v3, v55, v3
	v_add_f16_e32 v13, v26, v13
	v_fmac_f16_e32 v53, v14, v56
	v_fma_f16 v14, v14, v72, -v54
	v_sub_f16_e32 v30, v57, v30
	v_sub_f16_e32 v21, v19, v21
	;; [unrolled: 1-line block ×4, first 2 shown]
	v_fma_f16 v55, v55, 2.0, -v3
	v_sub_f16_e32 v5, v9, v5
	v_sub_f16_e32 v29, v1, v29
	v_fma_f16 v26, v26, 2.0, -v13
	v_sub_f16_e32 v25, v69, v25
	v_sub_f16_e32 v0, v8, v0
	;; [unrolled: 1-line block ×3, first 2 shown]
	v_fma_f16 v54, v57, 2.0, -v30
	v_sub_f16_e32 v28, v75, v28
	v_sub_f16_e32 v2, v10, v2
	;; [unrolled: 1-line block ×5, first 2 shown]
	v_fma_f16 v19, v19, 2.0, -v21
	v_fma_f16 v27, v27, 2.0, -v11
	;; [unrolled: 1-line block ×5, first 2 shown]
	v_fmamk_f16 v57, v26, 0xb9a8, v55
	v_fma_f16 v31, v69, 2.0, -v25
	v_fma_f16 v8, v8, 2.0, -v0
	;; [unrolled: 1-line block ×8, first 2 shown]
	v_add_f16_e32 v12, v25, v12
	v_add_f16_e32 v14, v28, v14
	v_sub_f16_e32 v20, v19, v20
	v_sub_f16_e32 v9, v27, v9
	v_fmac_f16_e32 v57, 0x39a8, v1
	v_sub_f16_e32 v54, v31, v54
	v_sub_f16_e32 v4, v8, v4
	v_sub_f16_e32 v30, v0, v30
	v_sub_f16_e32 v24, v56, v24
	v_sub_f16_e32 v6, v10, v6
	v_fma_f16 v25, v25, 2.0, -v12
	v_sub_f16_e32 v53, v2, v53
	v_fma_f16 v28, v28, 2.0, -v14
	v_fmamk_f16 v58, v1, 0xb9a8, v7
	v_fma_f16 v1, v19, 2.0, -v20
	v_fma_f16 v19, v27, 2.0, -v9
	;; [unrolled: 1-line block ×3, first 2 shown]
	v_fmamk_f16 v55, v29, 0x39a8, v22
	v_fma_f16 v31, v31, 2.0, -v54
	v_fma_f16 v8, v8, 2.0, -v4
	;; [unrolled: 1-line block ×6, first 2 shown]
	v_fmac_f16_e32 v58, 0xb9a8, v26
	v_fmamk_f16 v26, v13, 0x39a8, v3
	v_fmac_f16_e32 v55, 0xb9a8, v13
	v_fmamk_f16 v13, v28, 0xb9a8, v25
	v_sub_f16_e32 v10, v8, v10
	v_add_f16_e32 v5, v21, v5
	v_fmac_f16_e32 v26, 0x39a8, v29
	v_sub_f16_e32 v29, v31, v56
	v_fmamk_f16 v56, v2, 0xb9a8, v0
	v_fmac_f16_e32 v13, 0x39a8, v2
	v_fma_f16 v8, v8, 2.0, -v10
	v_add_f16_e32 v6, v54, v6
	v_fma_f16 v2, v31, 2.0, -v29
	v_fmac_f16_e32 v56, 0xb9a8, v28
	v_fmamk_f16 v28, v14, 0x39a8, v12
	v_fma_f16 v25, v25, 2.0, -v13
	v_fmamk_f16 v31, v53, 0x39a8, v30
	v_sub_f16_e32 v23, v11, v23
	v_fma_f16 v7, v7, 2.0, -v58
	v_fma_f16 v21, v21, 2.0, -v5
	v_sub_f16_e32 v24, v4, v24
	v_fmac_f16_e32 v28, 0x39a8, v53
	v_fma_f16 v0, v0, 2.0, -v56
	v_fma_f16 v53, v54, 2.0, -v6
	v_fmac_f16_e32 v31, 0xb9a8, v14
	v_fmamk_f16 v14, v25, 0xbb64, v27
	v_sub_f16_e32 v8, v19, v8
	v_fma_f16 v11, v11, 2.0, -v23
	v_fma_f16 v22, v22, 2.0, -v55
	;; [unrolled: 1-line block ×4, first 2 shown]
	v_fmamk_f16 v54, v0, 0xbb64, v7
	v_fmac_f16_e32 v14, 0x361f, v0
	v_fma_f16 v0, v19, 2.0, -v8
	v_fmamk_f16 v19, v53, 0xb9a8, v21
	v_fma_f16 v3, v3, 2.0, -v26
	v_fma_f16 v12, v12, 2.0, -v28
	v_fmac_f16_e32 v54, 0xb61f, v25
	v_fmamk_f16 v25, v4, 0xb9a8, v11
	v_fmac_f16_e32 v19, 0x39a8, v4
	v_fmamk_f16 v4, v30, 0xb61f, v22
	v_fmamk_f16 v59, v12, 0xb61f, v3
	v_sub_f16_e32 v2, v1, v2
	v_fmac_f16_e32 v25, 0xb9a8, v53
	v_fmamk_f16 v53, v6, 0x39a8, v5
	v_fmac_f16_e32 v4, 0xbb64, v12
	v_fmamk_f16 v12, v13, 0x361f, v57
	;; [unrolled: 2-line block ×3, first 2 shown]
	v_add_f16_e32 v10, v20, v10
	v_sub_f16_e32 v29, v9, v29
	v_fmac_f16_e32 v12, 0x3b64, v56
	v_fmamk_f16 v56, v24, 0x39a8, v23
	v_fmac_f16_e32 v30, 0xbb64, v13
	v_fmac_f16_e32 v53, 0x39a8, v24
	v_fmamk_f16 v24, v31, 0x3b64, v55
	v_fma_f16 v1, v1, 2.0, -v2
	v_fmac_f16_e32 v56, 0xb9a8, v6
	v_fmamk_f16 v6, v28, 0x3b64, v26
	v_fma_f16 v27, v27, 2.0, -v14
	v_fma_f16 v7, v7, 2.0, -v54
	;; [unrolled: 1-line block ×8, first 2 shown]
	v_fmac_f16_e32 v6, 0x361f, v31
	v_fmac_f16_e32 v24, 0xb61f, v28
	v_fma_f16 v3, v3, 2.0, -v59
	v_fma_f16 v22, v22, 2.0, -v4
	;; [unrolled: 1-line block ×4, first 2 shown]
	v_pack_b32_f16 v0, v1, v0
	v_pack_b32_f16 v1, v27, v7
	;; [unrolled: 1-line block ×5, first 2 shown]
	v_fma_f16 v13, v26, 2.0, -v6
	v_fma_f16 v20, v55, 2.0, -v24
	v_pack_b32_f16 v3, v3, v22
	ds_write2_b32 v47, v0, v1 offset1:48
	ds_write2_b32 v47, v7, v3 offset0:96 offset1:144
	ds_write2_b32 v47, v9, v11 offset0:192 offset1:240
	v_pack_b32_f16 v0, v5, v23
	v_pack_b32_f16 v1, v13, v20
	;; [unrolled: 1-line block ×10, first 2 shown]
	ds_write2_b32 v18, v0, v1 offset0:32 offset1:80
	ds_write2_b32 v18, v2, v3 offset0:128 offset1:176
	;; [unrolled: 1-line block ×5, first 2 shown]
	s_waitcnt lgkmcnt(0)
	s_barrier
	buffer_gl0_inv
	ds_read2_b32 v[0:1], v47 offset1:48
	s_waitcnt lgkmcnt(0)
	v_lshrrev_b32_e32 v4, 16, v0
	v_lshrrev_b32_e32 v11, 16, v1
	v_mul_f16_sdwa v2, v52, v4 dst_sel:DWORD dst_unused:UNUSED_PAD src0_sel:WORD_1 src1_sel:DWORD
	v_fmac_f16_e32 v2, v52, v0
	v_mul_f16_sdwa v0, v52, v0 dst_sel:DWORD dst_unused:UNUSED_PAD src0_sel:WORD_1 src1_sel:DWORD
	v_cvt_f32_f16_e32 v2, v2
	v_fma_f16 v0, v52, v4, -v0
	v_cvt_f64_f32_e32 v[2:3], v2
	v_cvt_f32_f16_e32 v0, v0
	v_cvt_f64_f32_e32 v[4:5], v0
	v_mul_f64 v[2:3], v[2:3], s[2:3]
	v_mul_f64 v[4:5], v[4:5], s[2:3]
	v_and_or_b32 v0, 0x1ff, v3, v2
	v_lshrrev_b32_e32 v2, 8, v3
	v_bfe_u32 v6, v3, 20, 11
	v_cmp_ne_u32_e32 vcc_lo, 0, v0
	v_and_or_b32 v4, 0x1ff, v5, v4
	v_lshrrev_b32_e32 v9, 8, v5
	v_bfe_u32 v10, v5, 20, 11
	v_add_nc_u32_e32 v12, 0xfffffc10, v6
	v_cndmask_b32_e64 v0, 0, 1, vcc_lo
	v_cmp_ne_u32_e32 vcc_lo, 0, v4
	v_add_nc_u32_e32 v21, 0xfffffc10, v10
	v_and_or_b32 v2, 0xffe, v2, v0
	v_sub_nc_u32_e32 v0, 0x3f1, v6
	v_cndmask_b32_e64 v4, 0, 1, vcc_lo
	v_cmp_gt_i32_e64 s1, 1, v21
	v_or_b32_e32 v7, 0x1000, v2
	v_med3_i32 v0, v0, 0, 13
	v_and_or_b32 v4, 0xffe, v9, v4
	v_sub_nc_u32_e32 v9, 0x3f1, v10
	v_lshrrev_b32_e32 v8, v0, v7
	v_or_b32_e32 v13, 0x1000, v4
	v_med3_i32 v6, v9, 0, 13
	v_lshl_or_b32 v10, v21, 12, v4
	v_lshlrev_b32_e32 v0, v0, v8
	v_lshrrev_b32_e32 v14, v6, v13
	v_cmp_ne_u32_e32 vcc_lo, v0, v7
	v_mul_f16_sdwa v7, v51, v11 dst_sel:DWORD dst_unused:UNUSED_PAD src0_sel:WORD_1 src1_sel:DWORD
	v_cndmask_b32_e64 v0, 0, 1, vcc_lo
	v_cmp_gt_i32_e32 vcc_lo, 1, v12
	v_fmac_f16_e32 v7, v51, v1
	v_mul_f16_sdwa v1, v51, v1 dst_sel:DWORD dst_unused:UNUSED_PAD src0_sel:WORD_1 src1_sel:DWORD
	v_or_b32_e32 v0, v8, v0
	v_lshl_or_b32 v8, v12, 12, v2
	v_fma_f16 v1, v51, v11, -v1
	v_cndmask_b32_e32 v19, v8, v0, vcc_lo
	v_lshlrev_b32_e32 v0, v6, v14
	v_cvt_f32_f16_e32 v8, v7
	v_mad_u64_u32 v[6:7], null, s10, v15, 0
	v_and_b32_e32 v20, 7, v19
	v_cmp_ne_u32_e32 vcc_lo, v0, v13
	v_cvt_f64_f32_e32 v[8:9], v8
	v_cmp_eq_u32_e64 s0, 3, v20
	v_cndmask_b32_e64 v13, 0, 1, vcc_lo
	v_cmp_lt_i32_e32 vcc_lo, 5, v20
	v_mov_b32_e32 v0, v7
	v_or_b32_e32 v7, v14, v13
	v_lshrrev_b32_e32 v13, 2, v19
	s_or_b32 vcc_lo, s0, vcc_lo
	v_lshrrev_b32_e32 v19, 16, v5
	v_cndmask_b32_e64 v10, v10, v7, s1
	v_add_co_ci_u32_e32 v7, vcc_lo, 0, v13, vcc_lo
	v_cmp_ne_u32_e32 vcc_lo, 0, v2
	v_cvt_f32_f16_e32 v13, v1
	v_and_b32_e32 v14, 7, v10
	v_lshrrev_b32_e32 v10, 2, v10
	v_cmp_eq_u32_e64 s1, 0x40f, v12
	v_cndmask_b32_e64 v11, 0, 1, vcc_lo
	v_cmp_gt_i32_e32 vcc_lo, 31, v12
	v_mul_f64 v[1:2], v[8:9], s[2:3]
	v_cmp_eq_u32_e64 s0, 3, v14
	v_lshl_or_b32 v11, v11, 9, 0x7c00
	v_cndmask_b32_e32 v9, 0x7c00, v7, vcc_lo
	v_cvt_f64_f32_e32 v[7:8], v13
	v_cmp_lt_i32_e32 vcc_lo, 5, v14
	v_cndmask_b32_e64 v9, v9, v11, s1
	v_lshrrev_b32_e32 v11, 16, v3
	s_or_b32 vcc_lo, s0, vcc_lo
	v_add_co_ci_u32_e32 v10, vcc_lo, 0, v10, vcc_lo
	v_cmp_ne_u32_e32 vcc_lo, 0, v4
	v_and_or_b32 v13, 0x8000, v11, v9
	v_cndmask_b32_e64 v12, 0, 1, vcc_lo
	v_cmp_gt_i32_e32 vcc_lo, 31, v21
	v_and_or_b32 v14, 0x1ff, v2, v1
	v_mad_u64_u32 v[3:4], null, s11, v15, v[0:1]
	v_bfe_u32 v15, v2, 20, 11
	v_cndmask_b32_e32 v4, 0x7c00, v10, vcc_lo
	v_mul_f64 v[8:9], v[7:8], s[2:3]
	ds_read2_b32 v[10:11], v47 offset0:96 offset1:144
	v_cmp_ne_u32_e32 vcc_lo, 0, v14
	v_lshrrev_b32_e32 v14, 8, v2
	v_mad_u64_u32 v[0:1], null, s8, v49, 0
	v_lshl_or_b32 v12, v12, 9, 0x7c00
	v_cndmask_b32_e64 v7, 0, 1, vcc_lo
	v_cmp_eq_u32_e32 vcc_lo, 0x40f, v21
	v_and_or_b32 v14, 0xffe, v14, v7
	v_sub_nc_u32_e32 v7, 0x3f1, v15
	v_cndmask_b32_e32 v12, v4, v12, vcc_lo
	v_mad_u64_u32 v[4:5], null, s9, v49, v[1:2]
	v_or_b32_e32 v5, 0x1000, v14
	v_med3_i32 v20, v7, 0, 13
	v_mov_b32_e32 v7, v3
	v_and_or_b32 v3, 0x8000, v19, v12
	v_and_b32_e32 v12, 0xffff, v13
	s_waitcnt lgkmcnt(0)
	v_lshrrev_b32_e32 v19, 16, v10
	v_lshrrev_b32_e32 v13, v20, v5
	v_and_or_b32 v8, 0x1ff, v9, v8
	v_mov_b32_e32 v1, v4
	v_lshl_or_b32 v12, v3, 16, v12
	v_mul_f16_sdwa v4, v50, v19 dst_sel:DWORD dst_unused:UNUSED_PAD src0_sel:WORD_1 src1_sel:DWORD
	v_lshlrev_b32_e32 v3, v20, v13
	v_cmp_ne_u32_e32 vcc_lo, 0, v8
	v_lshrrev_b32_e32 v20, 8, v9
	v_bfe_u32 v21, v9, 20, 11
	v_fmac_f16_e32 v4, v50, v10
	v_add_nc_u32_e32 v15, 0xfffffc10, v15
	v_cndmask_b32_e64 v8, 0, 1, vcc_lo
	v_cmp_ne_u32_e32 vcc_lo, v3, v5
	v_sub_nc_u32_e32 v5, 0x3f1, v21
	v_cvt_f32_f16_e32 v4, v4
	v_lshl_or_b32 v22, v15, 12, v14
	v_and_or_b32 v20, 0xffe, v20, v8
	v_cndmask_b32_e64 v3, 0, 1, vcc_lo
	v_med3_i32 v24, v5, 0, 13
	v_cmp_gt_i32_e32 vcc_lo, 1, v15
	v_lshlrev_b64 v[5:6], 2, v[6:7]
	v_or_b32_e32 v23, 0x1000, v20
	v_or_b32_e32 v13, v13, v3
	v_cvt_f64_f32_e32 v[3:4], v4
	v_lshlrev_b64 v[7:8], 2, v[0:1]
	v_mul_f16_sdwa v10, v50, v10 dst_sel:DWORD dst_unused:UNUSED_PAD src0_sel:WORD_1 src1_sel:DWORD
	v_cndmask_b32_e32 v13, v22, v13, vcc_lo
	v_lshrrev_b32_e32 v22, v24, v23
	v_add_co_u32 v0, vcc_lo, s4, v5
	v_add_co_ci_u32_e32 v1, vcc_lo, s5, v6, vcc_lo
	v_lshlrev_b32_e32 v24, v24, v22
	v_and_b32_e32 v25, 7, v13
	v_add_co_u32 v5, vcc_lo, v0, v7
	v_fma_f16 v7, v50, v19, -v10
	v_cmp_ne_u32_e64 s0, v24, v23
	v_add_co_ci_u32_e32 v6, vcc_lo, v1, v8, vcc_lo
	v_cmp_lt_i32_e32 vcc_lo, 5, v25
	v_cvt_f32_f16_e32 v7, v7
	v_cndmask_b32_e64 v8, 0, 1, s0
	v_cmp_eq_u32_e64 s0, 3, v25
	v_mul_f64 v[3:4], v[3:4], s[2:3]
	v_lshrrev_b32_e32 v13, 2, v13
	v_add_nc_u32_e32 v10, 0xfffffc10, v21
	v_or_b32_e32 v19, v22, v8
	s_or_b32 vcc_lo, s0, vcc_lo
	v_cvt_f64_f32_e32 v[7:8], v7
	v_add_co_ci_u32_e32 v13, vcc_lo, 0, v13, vcc_lo
	v_cmp_ne_u32_e32 vcc_lo, 0, v14
	v_lshl_or_b32 v21, v10, 12, v20
	global_store_dword v[5:6], v12, off
	s_mul_hi_u32 s4, s8, 0xc0
	s_mul_i32 s5, s8, 0xc0
	v_cndmask_b32_e64 v14, 0, 1, vcc_lo
	v_cmp_gt_i32_e32 vcc_lo, 1, v10
	v_lshl_or_b32 v14, v14, 9, 0x7c00
	v_cndmask_b32_e32 v19, v21, v19, vcc_lo
	v_cmp_gt_i32_e32 vcc_lo, 31, v15
	v_and_or_b32 v3, 0x1ff, v4, v3
	v_bfe_u32 v21, v4, 20, 11
	v_and_b32_e32 v12, 7, v19
	v_cndmask_b32_e32 v13, 0x7c00, v13, vcc_lo
	v_cmp_eq_u32_e32 vcc_lo, 0x40f, v15
	v_cmp_ne_u32_e64 s1, 0, v3
	v_cmp_eq_u32_e64 s0, 3, v12
	v_cndmask_b32_e32 v13, v13, v14, vcc_lo
	v_lshrrev_b32_e32 v14, 16, v2
	v_mul_f64 v[2:3], v[7:8], s[2:3]
	v_cmp_lt_i32_e32 vcc_lo, 5, v12
	v_lshrrev_b32_e32 v12, 2, v19
	v_cndmask_b32_e64 v15, 0, 1, s1
	v_lshrrev_b32_e32 v19, 8, v4
	v_lshrrev_b32_e32 v4, 16, v4
	s_or_b32 vcc_lo, s0, vcc_lo
	s_mul_i32 s0, s9, 0xc0
	v_add_co_ci_u32_e32 v7, vcc_lo, 0, v12, vcc_lo
	v_cmp_ne_u32_e32 vcc_lo, 0, v20
	v_and_or_b32 v12, 0xffe, v19, v15
	v_sub_nc_u32_e32 v15, 0x3f1, v21
	v_lshrrev_b32_e32 v19, 16, v11
	s_add_i32 s4, s4, s0
	v_cndmask_b32_e64 v8, 0, 1, vcc_lo
	v_cmp_gt_i32_e32 vcc_lo, 31, v10
	v_or_b32_e32 v20, 0x1000, v12
	v_med3_i32 v15, v15, 0, 13
	v_mul_f16_sdwa v22, v48, v19 dst_sel:DWORD dst_unused:UNUSED_PAD src0_sel:WORD_1 src1_sel:DWORD
	v_lshl_or_b32 v8, v8, 9, 0x7c00
	v_cndmask_b32_e32 v7, 0x7c00, v7, vcc_lo
	v_cmp_eq_u32_e32 vcc_lo, 0x40f, v10
	v_lshrrev_b32_e32 v10, v15, v20
	v_and_or_b32 v2, 0x1ff, v3, v2
	v_fmac_f16_e32 v22, v48, v11
	v_mul_f16_sdwa v11, v48, v11 dst_sel:DWORD dst_unused:UNUSED_PAD src0_sel:WORD_1 src1_sel:DWORD
	v_cndmask_b32_e32 v7, v7, v8, vcc_lo
	v_lshrrev_b32_e32 v8, 16, v9
	v_and_or_b32 v9, 0x8000, v14, v13
	v_lshlrev_b32_e32 v14, v15, v10
	v_cmp_ne_u32_e32 vcc_lo, 0, v2
	v_lshrrev_b32_e32 v15, 8, v3
	v_and_or_b32 v13, 0x8000, v8, v7
	v_cvt_f32_f16_e32 v7, v22
	v_and_b32_e32 v9, 0xffff, v9
	v_cndmask_b32_e64 v2, 0, 1, vcc_lo
	v_cmp_ne_u32_e32 vcc_lo, v14, v20
	v_add_nc_u32_e32 v20, 0xfffffc10, v21
	v_cvt_f64_f32_e32 v[7:8], v7
	v_bfe_u32 v22, v3, 20, 11
	v_lshl_or_b32 v21, v13, 16, v9
	v_cndmask_b32_e64 v14, 0, 1, vcc_lo
	v_cmp_gt_i32_e32 vcc_lo, 1, v20
	v_and_or_b32 v2, 0xffe, v15, v2
	v_sub_nc_u32_e32 v15, 0x3f1, v22
	v_lshrrev_b32_e32 v3, 16, v3
	v_or_b32_e32 v9, v10, v14
	v_lshl_or_b32 v10, v20, 12, v12
	v_or_b32_e32 v13, 0x1000, v2
	v_med3_i32 v14, v15, 0, 13
	v_cndmask_b32_e32 v9, v10, v9, vcc_lo
	v_fma_f16 v10, v48, v19, -v11
	v_lshrrev_b32_e32 v11, v14, v13
	v_add_nc_u32_e32 v19, 0xfffffc10, v22
	v_and_b32_e32 v15, 7, v9
	v_cvt_f32_f16_e32 v10, v10
	v_lshlrev_b32_e32 v14, v14, v11
	v_mul_f64 v[7:8], v[7:8], s[2:3]
	v_lshl_or_b32 v22, v19, 12, v2
	v_cmp_lt_i32_e32 vcc_lo, 5, v15
	v_cmp_eq_u32_e64 s0, 3, v15
	v_lshrrev_b32_e32 v15, 2, v9
	v_cvt_f64_f32_e32 v[9:10], v10
	v_cmp_ne_u32_e64 s1, v14, v13
	s_or_b32 vcc_lo, s0, vcc_lo
	v_add_co_ci_u32_e32 v14, vcc_lo, 0, v15, vcc_lo
	v_cmp_ne_u32_e32 vcc_lo, 0, v12
	v_cndmask_b32_e64 v13, 0, 1, s1
	v_cndmask_b32_e64 v15, 0, 1, vcc_lo
	v_cmp_gt_i32_e32 vcc_lo, 31, v20
	v_or_b32_e32 v13, v11, v13
	ds_read2_b32 v[11:12], v47 offset0:192 offset1:240
	v_lshl_or_b32 v15, v15, 9, 0x7c00
	v_cndmask_b32_e32 v14, 0x7c00, v14, vcc_lo
	v_cmp_gt_i32_e32 vcc_lo, 1, v19
	v_and_or_b32 v7, 0x1ff, v8, v7
	v_mul_f64 v[9:10], v[9:10], s[2:3]
	v_cndmask_b32_e32 v13, v22, v13, vcc_lo
	v_cmp_eq_u32_e32 vcc_lo, 0x40f, v20
	v_lshrrev_b32_e32 v20, 8, v8
	v_bfe_u32 v22, v8, 20, 11
	v_lshrrev_b32_e32 v8, 16, v8
	v_cndmask_b32_e32 v14, v14, v15, vcc_lo
	v_cmp_ne_u32_e32 vcc_lo, 0, v7
	v_and_b32_e32 v15, 7, v13
	v_lshrrev_b32_e32 v13, 2, v13
	v_and_or_b32 v4, 0x8000, v4, v14
	v_cndmask_b32_e64 v7, 0, 1, vcc_lo
	v_cmp_lt_i32_e32 vcc_lo, 5, v15
	v_cmp_eq_u32_e64 s0, 3, v15
	v_and_or_b32 v15, 0xffe, v20, v7
	v_sub_nc_u32_e32 v7, 0x3f1, v22
	s_or_b32 vcc_lo, s0, vcc_lo
	s_waitcnt lgkmcnt(0)
	v_lshrrev_b32_e32 v20, 16, v11
	v_add_co_ci_u32_e32 v13, vcc_lo, 0, v13, vcc_lo
	v_or_b32_e32 v23, 0x1000, v15
	v_med3_i32 v7, v7, 0, 13
	v_cmp_gt_i32_e32 vcc_lo, 31, v19
	v_mul_f16_sdwa v24, v46, v20 dst_sel:DWORD dst_unused:UNUSED_PAD src0_sel:WORD_1 src1_sel:DWORD
	v_and_or_b32 v9, 0x1ff, v10, v9
	v_bfe_u32 v27, v10, 20, 11
	v_lshrrev_b32_e32 v26, v7, v23
	v_cndmask_b32_e32 v25, 0x7c00, v13, vcc_lo
	v_cmp_ne_u32_e32 vcc_lo, 0, v2
	v_fmac_f16_e32 v24, v46, v11
	v_add_nc_u32_e32 v22, 0xfffffc10, v22
	v_lshlrev_b32_e32 v7, v7, v26
	v_mul_f16_sdwa v11, v46, v11 dst_sel:DWORD dst_unused:UNUSED_PAD src0_sel:WORD_1 src1_sel:DWORD
	v_cndmask_b32_e64 v2, 0, 1, vcc_lo
	v_cmp_ne_u32_e32 vcc_lo, 0, v9
	v_cvt_f32_f16_e32 v13, v24
	v_lshrrev_b32_e32 v24, 8, v10
	v_cmp_eq_u32_e64 s1, 0x40f, v22
	v_lshl_or_b32 v2, v2, 9, 0x7c00
	v_cndmask_b32_e64 v9, 0, 1, vcc_lo
	v_cmp_ne_u32_e32 vcc_lo, v7, v23
	v_cvt_f64_f32_e32 v[13:14], v13
	v_sub_nc_u32_e32 v23, 0x3f1, v27
	v_and_or_b32 v9, 0xffe, v24, v9
	v_cndmask_b32_e64 v7, 0, 1, vcc_lo
	v_cmp_eq_u32_e32 vcc_lo, 0x40f, v19
	v_med3_i32 v23, v23, 0, 13
	v_lshl_or_b32 v24, v22, 12, v15
	v_or_b32_e32 v7, v26, v7
	v_or_b32_e32 v26, 0x1000, v9
	v_cndmask_b32_e32 v2, v25, v2, vcc_lo
	v_cmp_gt_i32_e32 vcc_lo, 1, v22
	v_and_b32_e32 v25, 0xffff, v4
	v_lshrrev_b32_e32 v19, v23, v26
	v_cndmask_b32_e32 v7, v24, v7, vcc_lo
	v_and_or_b32 v24, 0x8000, v3, v2
	v_add_co_u32 v4, vcc_lo, v5, s5
	v_lshlrev_b32_e32 v23, v23, v19
	v_and_b32_e32 v28, 7, v7
	v_mul_f64 v[2:3], v[13:14], s[2:3]
	v_add_co_ci_u32_e32 v5, vcc_lo, s4, v6, vcc_lo
	v_cmp_ne_u32_e64 s0, v23, v26
	v_fma_f16 v6, v46, v20, -v11
	v_cmp_lt_i32_e32 vcc_lo, 5, v28
	v_lshrrev_b32_e32 v20, 2, v7
	v_add_nc_u32_e32 v14, 0xfffffc10, v27
	v_cndmask_b32_e64 v11, 0, 1, s0
	v_cmp_eq_u32_e64 s0, 3, v28
	v_cvt_f32_f16_e32 v6, v6
	v_lshl_or_b32 v13, v24, 16, v25
	v_or_b32_e32 v11, v19, v11
	s_or_b32 vcc_lo, s0, vcc_lo
	v_lshl_or_b32 v19, v14, 12, v9
	v_add_co_ci_u32_e32 v20, vcc_lo, 0, v20, vcc_lo
	v_cmp_gt_i32_e32 vcc_lo, 1, v14
	v_cvt_f64_f32_e32 v[6:7], v6
	v_and_or_b32 v2, 0x1ff, v3, v2
	v_cndmask_b32_e32 v11, v19, v11, vcc_lo
	v_cmp_gt_i32_e32 vcc_lo, 31, v22
	v_lshrrev_b32_e32 v23, 8, v3
	v_bfe_u32 v24, v3, 20, 11
	v_cndmask_b32_e32 v19, 0x7c00, v20, vcc_lo
	v_cmp_ne_u32_e32 vcc_lo, 0, v15
	v_and_b32_e32 v20, 7, v11
	v_lshrrev_b32_e32 v11, 2, v11
	v_cndmask_b32_e64 v15, 0, 1, vcc_lo
	v_cmp_ne_u32_e32 vcc_lo, 0, v2
	v_cmp_eq_u32_e64 s0, 3, v20
	v_lshl_or_b32 v15, v15, 9, 0x7c00
	v_cndmask_b32_e64 v2, 0, 1, vcc_lo
	v_cmp_lt_i32_e32 vcc_lo, 5, v20
	v_mul_f64 v[6:7], v[6:7], s[2:3]
	v_sub_nc_u32_e32 v20, 0x3f1, v24
	v_cndmask_b32_e64 v15, v19, v15, s1
	v_and_or_b32 v2, 0xffe, v23, v2
	s_or_b32 vcc_lo, s0, vcc_lo
	v_lshrrev_b32_e32 v23, 16, v12
	v_add_co_ci_u32_e32 v11, vcc_lo, 0, v11, vcc_lo
	v_or_b32_e32 v19, 0x1000, v2
	v_med3_i32 v20, v20, 0, 13
	v_cmp_ne_u32_e32 vcc_lo, 0, v9
	v_and_or_b32 v15, 0x8000, v8, v15
	v_lshrrev_b32_e32 v22, v20, v19
	v_cndmask_b32_e64 v9, 0, 1, vcc_lo
	v_cmp_gt_i32_e32 vcc_lo, 31, v14
	v_and_b32_e32 v15, 0xffff, v15
	v_lshlrev_b32_e32 v8, v20, v22
	v_lshl_or_b32 v9, v9, 9, 0x7c00
	v_cndmask_b32_e32 v11, 0x7c00, v11, vcc_lo
	v_cmp_eq_u32_e32 vcc_lo, 0x40f, v14
	v_and_or_b32 v6, 0x1ff, v7, v6
	v_lshrrev_b32_e32 v20, 16, v10
	v_lshrrev_b32_e32 v10, 8, v7
	v_cndmask_b32_e32 v14, v11, v9, vcc_lo
	v_mul_f16_sdwa v9, v45, v23 dst_sel:DWORD dst_unused:UNUSED_PAD src0_sel:WORD_1 src1_sel:DWORD
	v_cmp_ne_u32_e32 vcc_lo, v8, v19
	v_add_nc_u32_e32 v19, 0xfffffc10, v24
	v_bfe_u32 v24, v7, 20, 11
	v_and_or_b32 v14, 0x8000, v20, v14
	v_fmac_f16_e32 v9, v45, v12
	v_cndmask_b32_e64 v8, 0, 1, vcc_lo
	v_cmp_ne_u32_e32 vcc_lo, 0, v6
	v_mul_f16_sdwa v12, v45, v12 dst_sel:DWORD dst_unused:UNUSED_PAD src0_sel:WORD_1 src1_sel:DWORD
	v_cvt_f32_f16_e32 v9, v9
	v_or_b32_e32 v11, v22, v8
	v_cndmask_b32_e64 v6, 0, 1, vcc_lo
	v_lshl_or_b32 v22, v19, 12, v2
	v_cmp_gt_i32_e32 vcc_lo, 1, v19
	v_cvt_f64_f32_e32 v[8:9], v9
	v_and_or_b32 v6, 0xffe, v10, v6
	v_sub_nc_u32_e32 v10, 0x3f1, v24
	v_cndmask_b32_e32 v22, v22, v11, vcc_lo
	v_or_b32_e32 v25, 0x1000, v6
	v_med3_i32 v26, v10, 0, 13
	v_add_co_u32 v10, vcc_lo, v4, s5
	v_add_co_ci_u32_e32 v11, vcc_lo, s4, v5, vcc_lo
	v_lshrrev_b32_e32 v20, v26, v25
	v_and_b32_e32 v27, 7, v22
	global_store_dword v[4:5], v21, off
	global_store_dword v[10:11], v13, off
	v_lshl_or_b32 v13, v14, 16, v15
	v_lshrrev_b32_e32 v14, 2, v22
	v_lshlrev_b32_e32 v4, v26, v20
	v_cmp_lt_i32_e32 vcc_lo, 5, v27
	v_cmp_eq_u32_e64 s0, 3, v27
	v_add_nc_u32_e32 v21, 0xfffffc10, v24
	v_cmp_ne_u32_e64 s1, v4, v25
	v_mul_f64 v[4:5], v[8:9], s[2:3]
	s_or_b32 vcc_lo, s0, vcc_lo
	v_fma_f16 v8, v45, v23, -v12
	v_add_co_ci_u32_e32 v12, vcc_lo, 0, v14, vcc_lo
	v_cndmask_b32_e64 v15, 0, 1, s1
	v_cmp_ne_u32_e32 vcc_lo, 0, v2
	v_lshl_or_b32 v14, v21, 12, v6
	v_cvt_f32_f16_e32 v8, v8
	v_lshrrev_b32_e32 v23, 16, v3
	v_or_b32_e32 v9, v20, v15
	v_cndmask_b32_e64 v2, 0, 1, vcc_lo
	v_cmp_gt_i32_e32 vcc_lo, 1, v21
	v_lshl_or_b32 v2, v2, 9, 0x7c00
	v_cndmask_b32_e32 v14, v14, v9, vcc_lo
	v_cvt_f64_f32_e32 v[8:9], v8
	v_add_co_u32 v10, vcc_lo, v10, s5
	v_add_co_ci_u32_e32 v11, vcc_lo, s4, v11, vcc_lo
	v_cmp_gt_i32_e32 vcc_lo, 31, v19
	v_and_or_b32 v4, 0x1ff, v5, v4
	v_and_b32_e32 v15, 7, v14
	v_bfe_u32 v20, v5, 20, 11
	global_store_dword v[10:11], v13, off
	v_cndmask_b32_e32 v12, 0x7c00, v12, vcc_lo
	v_cmp_eq_u32_e32 vcc_lo, 0x40f, v19
	v_cmp_ne_u32_e64 s0, 0, v4
	v_lshrrev_b32_e32 v4, 8, v5
	v_lshrrev_b32_e32 v14, 2, v14
	;; [unrolled: 1-line block ×3, first 2 shown]
	v_cndmask_b32_e32 v19, v12, v2, vcc_lo
	v_cndmask_b32_e64 v2, 0, 1, s0
	v_cmp_lt_i32_e32 vcc_lo, 5, v15
	v_cmp_eq_u32_e64 s0, 3, v15
	ds_read2_b32 v[12:13], v18 offset0:32 offset1:80
	v_and_or_b32 v19, 0x8000, v23, v19
	v_mul_f64 v[8:9], v[8:9], s[2:3]
	v_and_or_b32 v15, 0xffe, v4, v2
	v_sub_nc_u32_e32 v2, 0x3f1, v20
	s_or_b32 vcc_lo, s0, vcc_lo
	v_add_nc_u32_e32 v20, 0xfffffc10, v20
	v_add_co_ci_u32_e32 v4, vcc_lo, 0, v14, vcc_lo
	v_or_b32_e32 v14, 0x1000, v15
	v_med3_i32 v22, v2, 0, 13
	v_cmp_ne_u32_e32 vcc_lo, 0, v6
	v_and_b32_e32 v19, 0xffff, v19
	v_lshrrev_b32_e32 v6, v22, v14
	v_cndmask_b32_e64 v2, 0, 1, vcc_lo
	v_cmp_gt_i32_e32 vcc_lo, 31, v21
	v_lshlrev_b32_e32 v22, v22, v6
	v_lshl_or_b32 v24, v2, 9, 0x7c00
	v_cndmask_b32_e32 v4, 0x7c00, v4, vcc_lo
	v_cmp_eq_u32_e32 vcc_lo, 0x40f, v21
	s_waitcnt lgkmcnt(0)
	v_lshrrev_b32_e32 v25, 16, v12
	v_and_or_b32 v8, 0x1ff, v9, v8
	v_mad_u64_u32 v[2:3], null, s8, v43, 0
	v_cndmask_b32_e32 v21, v4, v24, vcc_lo
	v_cmp_ne_u32_e32 vcc_lo, v22, v14
	v_mul_f16_sdwa v4, v44, v25 dst_sel:DWORD dst_unused:UNUSED_PAD src0_sel:WORD_1 src1_sel:DWORD
	v_lshrrev_b32_e32 v24, 16, v7
	v_lshrrev_b32_e32 v14, 8, v9
	v_bfe_u32 v22, v9, 20, 11
	v_cndmask_b32_e64 v7, 0, 1, vcc_lo
	v_cmp_ne_u32_e32 vcc_lo, 0, v8
	v_fmac_f16_e32 v4, v44, v12
	v_mul_f16_sdwa v12, v44, v12 dst_sel:DWORD dst_unused:UNUSED_PAD src0_sel:WORD_1 src1_sel:DWORD
	v_and_or_b32 v21, 0x8000, v24, v21
	v_or_b32_e32 v6, v6, v7
	v_cndmask_b32_e64 v8, 0, 1, vcc_lo
	v_lshl_or_b32 v7, v20, 12, v15
	v_cmp_gt_i32_e32 vcc_lo, 1, v20
	v_cvt_f32_f16_e32 v4, v4
	v_fma_f16 v12, v44, v25, -v12
	v_and_or_b32 v8, 0xffe, v14, v8
	v_sub_nc_u32_e32 v14, 0x3f1, v22
	v_cndmask_b32_e32 v26, v7, v6, vcc_lo
	v_cvt_f64_f32_e32 v[6:7], v4
	v_mad_u64_u32 v[3:4], null, s9, v43, v[3:4]
	v_or_b32_e32 v27, 0x1000, v8
	v_med3_i32 v14, v14, 0, 13
	v_and_b32_e32 v4, 7, v26
	v_add_nc_u32_e32 v22, 0xfffffc10, v22
	v_cvt_f32_f16_e32 v12, v12
	v_lshl_or_b32 v19, v21, 16, v19
	v_lshrrev_b32_e32 v23, v14, v27
	v_cmp_lt_i32_e32 vcc_lo, 5, v4
	v_cmp_eq_u32_e64 s0, 3, v4
	v_lshrrev_b32_e32 v4, 2, v26
	v_lshlrev_b64 v[2:3], 2, v[2:3]
	v_lshlrev_b32_e32 v14, v14, v23
	v_lshrrev_b32_e32 v9, 16, v9
	s_or_b32 vcc_lo, s0, vcc_lo
	v_add_co_ci_u32_e32 v4, vcc_lo, 0, v4, vcc_lo
	v_cmp_ne_u32_e32 vcc_lo, v14, v27
	v_mul_f64 v[6:7], v[6:7], s[2:3]
	v_cndmask_b32_e64 v14, 0, 1, vcc_lo
	v_cmp_ne_u32_e32 vcc_lo, 0, v15
	v_or_b32_e32 v14, v23, v14
	v_cndmask_b32_e64 v15, 0, 1, vcc_lo
	v_cmp_gt_i32_e32 vcc_lo, 31, v20
	v_lshl_or_b32 v23, v22, 12, v8
	v_lshl_or_b32 v24, v15, 9, 0x7c00
	v_cndmask_b32_e32 v4, 0x7c00, v4, vcc_lo
	v_cmp_gt_i32_e32 vcc_lo, 1, v22
	v_cndmask_b32_e32 v23, v23, v14, vcc_lo
	v_cvt_f64_f32_e32 v[14:15], v12
	v_cmp_eq_u32_e32 vcc_lo, 0x40f, v20
	v_and_or_b32 v6, 0x1ff, v7, v6
	v_bfe_u32 v21, v7, 20, 11
	v_and_b32_e32 v12, 7, v23
	v_cndmask_b32_e32 v4, v4, v24, vcc_lo
	v_cmp_ne_u32_e64 s1, 0, v6
	v_lshrrev_b32_e32 v6, 8, v7
	v_cmp_lt_i32_e32 vcc_lo, 5, v12
	v_cmp_eq_u32_e64 s0, 3, v12
	v_and_or_b32 v20, 0x8000, v5, v4
	v_lshrrev_b32_e32 v4, 2, v23
	v_cndmask_b32_e64 v5, 0, 1, s1
	s_or_b32 vcc_lo, s0, vcc_lo
	v_and_b32_e32 v20, 0xffff, v20
	v_add_co_ci_u32_e32 v12, vcc_lo, 0, v4, vcc_lo
	v_cmp_ne_u32_e32 vcc_lo, 0, v8
	v_and_or_b32 v6, 0xffe, v6, v5
	s_mul_i32 s0, s9, 0x180
	v_mul_f64 v[4:5], v[14:15], s[2:3]
	v_sub_nc_u32_e32 v14, 0x3f1, v21
	v_cndmask_b32_e64 v8, 0, 1, vcc_lo
	v_cmp_gt_i32_e32 vcc_lo, 31, v22
	v_or_b32_e32 v23, 0x1000, v6
	v_lshrrev_b32_e32 v15, 16, v13
	v_med3_i32 v14, v14, 0, 13
	v_lshl_or_b32 v8, v8, 9, 0x7c00
	v_cndmask_b32_e32 v12, 0x7c00, v12, vcc_lo
	v_cmp_eq_u32_e32 vcc_lo, 0x40f, v22
	v_mul_f16_sdwa v24, v42, v15 dst_sel:DWORD dst_unused:UNUSED_PAD src0_sel:WORD_1 src1_sel:DWORD
	v_add_nc_u32_e32 v21, 0xfffffc10, v21
	s_add_i32 s6, s6, s0
	v_cndmask_b32_e32 v8, v12, v8, vcc_lo
	v_lshrrev_b32_e32 v12, v14, v23
	v_fmac_f16_e32 v24, v42, v13
	v_add_co_u32 v2, vcc_lo, v0, v2
	v_add_co_ci_u32_e32 v3, vcc_lo, v1, v3, vcc_lo
	v_lshlrev_b32_e32 v14, v14, v12
	v_and_or_b32 v4, 0x1ff, v5, v4
	v_cvt_f32_f16_e32 v22, v24
	v_and_or_b32 v24, 0x8000, v9, v8
	v_mul_f16_sdwa v13, v42, v13 dst_sel:DWORD dst_unused:UNUSED_PAD src0_sel:WORD_1 src1_sel:DWORD
	v_cmp_ne_u32_e32 vcc_lo, v14, v23
	v_bfe_u32 v23, v5, 20, 11
	v_cvt_f64_f32_e32 v[8:9], v22
	v_lshrrev_b32_e32 v22, 8, v5
	v_lshl_or_b32 v20, v24, 16, v20
	v_cndmask_b32_e64 v14, 0, 1, vcc_lo
	v_cmp_ne_u32_e32 vcc_lo, 0, v4
	v_fma_f16 v13, v42, v15, -v13
	v_or_b32_e32 v12, v12, v14
	v_cndmask_b32_e64 v4, 0, 1, vcc_lo
	v_lshl_or_b32 v14, v21, 12, v6
	v_cmp_gt_i32_e32 vcc_lo, 1, v21
	v_cvt_f32_f16_e32 v13, v13
	v_and_or_b32 v4, 0xffe, v22, v4
	v_sub_nc_u32_e32 v22, 0x3f1, v23
	v_cndmask_b32_e32 v12, v14, v12, vcc_lo
	v_add_co_u32 v10, vcc_lo, v10, s7
	v_or_b32_e32 v14, 0x1000, v4
	v_med3_i32 v22, v22, 0, 13
	v_and_b32_e32 v24, 7, v12
	v_mul_f64 v[8:9], v[8:9], s[2:3]
	v_add_co_ci_u32_e32 v11, vcc_lo, s6, v11, vcc_lo
	v_lshrrev_b32_e32 v25, v22, v14
	v_cmp_lt_i32_e32 vcc_lo, 5, v24
	v_cmp_eq_u32_e64 s0, 3, v24
	v_lshrrev_b32_e32 v12, 2, v12
	v_lshlrev_b32_e32 v22, v22, v25
	s_or_b32 vcc_lo, s0, vcc_lo
	v_cmp_ne_u32_e64 s1, v22, v14
	v_add_nc_u32_e32 v22, 0xfffffc10, v23
	v_add_co_ci_u32_e32 v23, vcc_lo, 0, v12, vcc_lo
	v_cmp_ne_u32_e32 vcc_lo, 0, v6
	v_cndmask_b32_e64 v14, 0, 1, s1
	v_cvt_f64_f32_e32 v[12:13], v13
	v_cndmask_b32_e64 v6, 0, 1, vcc_lo
	v_or_b32_e32 v24, v25, v14
	v_lshl_or_b32 v25, v22, 12, v4
	v_cmp_gt_i32_e32 vcc_lo, 1, v22
	ds_read2_b32 v[14:15], v18 offset0:128 offset1:176
	v_and_or_b32 v8, 0x1ff, v9, v8
	v_lshl_or_b32 v6, v6, 9, 0x7c00
	v_bfe_u32 v26, v9, 20, 11
	v_cndmask_b32_e32 v18, v25, v24, vcc_lo
	v_cmp_gt_i32_e32 vcc_lo, 31, v21
	v_lshrrev_b32_e32 v25, 8, v9
	global_store_dword v[2:3], v19, off
	global_store_dword v[10:11], v20, off
	v_and_b32_e32 v24, 7, v18
	v_cndmask_b32_e32 v23, 0x7c00, v23, vcc_lo
	v_cmp_ne_u32_e32 vcc_lo, 0, v8
	v_cmp_eq_u32_e64 s0, 3, v24
	v_cndmask_b32_e64 v8, 0, 1, vcc_lo
	v_cmp_eq_u32_e32 vcc_lo, 0x40f, v21
	v_and_or_b32 v8, 0xffe, v25, v8
	v_cndmask_b32_e32 v21, v23, v6, vcc_lo
	v_cmp_lt_i32_e32 vcc_lo, 5, v24
	v_lshrrev_b32_e32 v23, 16, v7
	v_mul_f64 v[6:7], v[12:13], s[2:3]
	v_lshrrev_b32_e32 v13, 2, v18
	v_sub_nc_u32_e32 v25, 0x3f1, v26
	s_or_b32 vcc_lo, s0, vcc_lo
	v_or_b32_e32 v18, 0x1000, v8
	s_waitcnt lgkmcnt(0)
	v_lshrrev_b32_e32 v12, 16, v14
	v_add_co_ci_u32_e32 v13, vcc_lo, 0, v13, vcc_lo
	v_med3_i32 v24, v25, 0, 13
	v_cmp_ne_u32_e32 vcc_lo, 0, v4
	v_mul_f16_sdwa v25, v41, v12 dst_sel:DWORD dst_unused:UNUSED_PAD src0_sel:WORD_1 src1_sel:DWORD
	v_and_or_b32 v21, 0x8000, v23, v21
	v_lshrrev_b32_e32 v27, v24, v18
	v_cndmask_b32_e64 v4, 0, 1, vcc_lo
	v_cmp_gt_i32_e32 vcc_lo, 31, v22
	v_fmac_f16_e32 v25, v41, v14
	v_and_b32_e32 v21, 0xffff, v21
	v_lshlrev_b32_e32 v23, v24, v27
	v_lshl_or_b32 v4, v4, 9, 0x7c00
	v_cndmask_b32_e32 v13, 0x7c00, v13, vcc_lo
	v_cmp_eq_u32_e32 vcc_lo, 0x40f, v22
	v_and_or_b32 v6, 0x1ff, v7, v6
	v_cvt_f32_f16_e32 v24, v25
	v_lshrrev_b32_e32 v22, 16, v5
	v_bfe_u32 v25, v7, 20, 11
	v_cndmask_b32_e32 v13, v13, v4, vcc_lo
	v_cmp_ne_u32_e32 vcc_lo, v23, v18
	v_cvt_f64_f32_e32 v[4:5], v24
	v_add_nc_u32_e32 v23, 0xfffffc10, v26
	v_lshrrev_b32_e32 v24, 8, v7
	v_and_or_b32 v13, 0x8000, v22, v13
	v_cndmask_b32_e64 v18, 0, 1, vcc_lo
	v_cmp_ne_u32_e32 vcc_lo, 0, v6
	v_lshl_or_b32 v22, v23, 12, v8
	v_lshrrev_b32_e32 v7, 16, v7
	v_lshl_or_b32 v13, v13, 16, v21
	v_or_b32_e32 v18, v27, v18
	v_cndmask_b32_e64 v6, 0, 1, vcc_lo
	v_cmp_gt_i32_e32 vcc_lo, 1, v23
	v_and_or_b32 v6, 0xffe, v24, v6
	v_sub_nc_u32_e32 v24, 0x3f1, v25
	v_cndmask_b32_e32 v18, v22, v18, vcc_lo
	v_or_b32_e32 v22, 0x1000, v6
	v_med3_i32 v24, v24, 0, 13
	v_and_b32_e32 v19, 7, v18
	v_mul_f64 v[2:3], v[4:5], s[2:3]
	v_add_co_u32 v4, vcc_lo, v10, s5
	v_lshrrev_b32_e32 v20, v24, v22
	v_add_co_ci_u32_e32 v5, vcc_lo, s4, v11, vcc_lo
	v_cmp_lt_i32_e32 vcc_lo, 5, v19
	v_cmp_eq_u32_e64 s0, 3, v19
	v_lshlrev_b32_e32 v10, v24, v20
	v_mul_f16_sdwa v11, v41, v14 dst_sel:DWORD dst_unused:UNUSED_PAD src0_sel:WORD_1 src1_sel:DWORD
	v_lshrrev_b32_e32 v14, 2, v18
	global_store_dword v[4:5], v13, off
	s_or_b32 vcc_lo, s0, vcc_lo
	v_cmp_ne_u32_e64 s1, v10, v22
	v_fma_f16 v11, v41, v12, -v11
	v_add_co_ci_u32_e32 v14, vcc_lo, 0, v14, vcc_lo
	v_add_nc_u32_e32 v12, 0xfffffc10, v25
	v_cndmask_b32_e64 v10, 0, 1, s1
	v_cmp_ne_u32_e32 vcc_lo, 0, v8
	v_cvt_f32_f16_e32 v11, v11
	v_lshrrev_b32_e32 v22, 16, v9
	v_lshl_or_b32 v19, v12, 12, v6
	v_or_b32_e32 v18, v20, v10
	v_cndmask_b32_e64 v8, 0, 1, vcc_lo
	v_cmp_gt_i32_e32 vcc_lo, 1, v12
	v_cvt_f64_f32_e32 v[10:11], v11
	v_and_or_b32 v2, 0x1ff, v3, v2
	v_bfe_u32 v21, v3, 20, 11
	v_lshl_or_b32 v8, v8, 9, 0x7c00
	v_cndmask_b32_e32 v18, v19, v18, vcc_lo
	v_cmp_gt_i32_e32 vcc_lo, 31, v23
	v_lshrrev_b32_e32 v20, 8, v3
	v_and_b32_e32 v19, 7, v18
	v_cndmask_b32_e32 v14, 0x7c00, v14, vcc_lo
	v_cmp_ne_u32_e32 vcc_lo, 0, v2
	v_lshrrev_b32_e32 v18, 2, v18
	v_cmp_eq_u32_e64 s0, 3, v19
	v_cndmask_b32_e64 v2, 0, 1, vcc_lo
	v_cmp_eq_u32_e32 vcc_lo, 0x40f, v23
	v_and_or_b32 v2, 0xffe, v20, v2
	v_cndmask_b32_e32 v14, v14, v8, vcc_lo
	v_sub_nc_u32_e32 v8, 0x3f1, v21
	v_cmp_lt_i32_e32 vcc_lo, 5, v19
	v_or_b32_e32 v19, 0x1000, v2
	v_and_or_b32 v14, 0x8000, v22, v14
	v_med3_i32 v20, v8, 0, 13
	v_mul_f64 v[8:9], v[10:11], s[2:3]
	s_or_b32 vcc_lo, s0, vcc_lo
	v_lshrrev_b32_e32 v11, 16, v15
	v_add_co_ci_u32_e32 v10, vcc_lo, 0, v18, vcc_lo
	v_cmp_ne_u32_e32 vcc_lo, 0, v6
	v_lshrrev_b32_e32 v18, v20, v19
	v_mul_f16_sdwa v23, v40, v11 dst_sel:DWORD dst_unused:UNUSED_PAD src0_sel:WORD_1 src1_sel:DWORD
	v_and_b32_e32 v14, 0xffff, v14
	v_cndmask_b32_e64 v6, 0, 1, vcc_lo
	v_cmp_gt_i32_e32 vcc_lo, 31, v12
	v_lshlrev_b32_e32 v20, v20, v18
	v_fmac_f16_e32 v23, v40, v15
	v_lshl_or_b32 v6, v6, 9, 0x7c00
	v_cndmask_b32_e32 v10, 0x7c00, v10, vcc_lo
	v_cmp_eq_u32_e32 vcc_lo, 0x40f, v12
	v_add_nc_u32_e32 v12, 0xfffffc10, v21
	v_cndmask_b32_e32 v6, v10, v6, vcc_lo
	v_cmp_ne_u32_e32 vcc_lo, v20, v19
	v_and_or_b32 v8, 0x1ff, v9, v8
	v_cvt_f32_f16_e32 v19, v23
	v_bfe_u32 v21, v9, 20, 11
	v_and_or_b32 v20, 0x8000, v7, v6
	v_cndmask_b32_e64 v10, 0, 1, vcc_lo
	v_cmp_ne_u32_e32 vcc_lo, 0, v8
	v_cvt_f64_f32_e32 v[6:7], v19
	v_lshrrev_b32_e32 v19, 8, v9
	v_lshl_or_b32 v14, v20, 16, v14
	v_or_b32_e32 v10, v18, v10
	v_lshl_or_b32 v18, v12, 12, v2
	v_cndmask_b32_e64 v8, 0, 1, vcc_lo
	v_cmp_gt_i32_e32 vcc_lo, 1, v12
	v_and_or_b32 v8, 0xffe, v19, v8
	v_cndmask_b32_e32 v10, v18, v10, vcc_lo
	v_sub_nc_u32_e32 v18, 0x3f1, v21
	v_add_co_u32 v4, vcc_lo, v4, s5
	v_or_b32_e32 v19, 0x1000, v8
	v_and_b32_e32 v13, 7, v10
	v_med3_i32 v18, v18, 0, 13
	v_add_co_ci_u32_e32 v5, vcc_lo, s4, v5, vcc_lo
	v_lshrrev_b32_e32 v10, 2, v10
	v_cmp_lt_i32_e32 vcc_lo, 5, v13
	v_lshrrev_b32_e32 v20, v18, v19
	v_cmp_eq_u32_e64 s0, 3, v13
	v_mul_f16_sdwa v13, v40, v15 dst_sel:DWORD dst_unused:UNUSED_PAD src0_sel:WORD_1 src1_sel:DWORD
	v_mul_f64 v[6:7], v[6:7], s[2:3]
	global_store_dword v[4:5], v14, off
	v_lshlrev_b32_e32 v15, v18, v20
	s_or_b32 vcc_lo, s0, vcc_lo
	v_fma_f16 v11, v40, v11, -v13
	v_add_co_ci_u32_e32 v10, vcc_lo, 0, v10, vcc_lo
	v_cmp_ne_u32_e32 vcc_lo, v15, v19
	v_add_nc_u32_e32 v15, 0xfffffc10, v21
	v_cvt_f32_f16_e32 v11, v11
	v_cndmask_b32_e64 v13, 0, 1, vcc_lo
	v_cmp_ne_u32_e32 vcc_lo, 0, v2
	v_lshl_or_b32 v18, v15, 12, v8
	v_or_b32_e32 v13, v20, v13
	v_cndmask_b32_e64 v2, 0, 1, vcc_lo
	v_cmp_gt_i32_e32 vcc_lo, 31, v12
	v_and_or_b32 v6, 0x1ff, v7, v6
	v_lshl_or_b32 v2, v2, 9, 0x7c00
	v_cndmask_b32_e32 v19, 0x7c00, v10, vcc_lo
	v_cmp_gt_i32_e32 vcc_lo, 1, v15
	v_cvt_f64_f32_e32 v[10:11], v11
	v_bfe_u32 v20, v7, 20, 11
	v_cndmask_b32_e32 v13, v18, v13, vcc_lo
	v_cmp_eq_u32_e32 vcc_lo, 0x40f, v12
	v_lshrrev_b32_e32 v12, 2, v13
	v_cndmask_b32_e32 v18, v19, v2, vcc_lo
	v_cmp_ne_u32_e32 vcc_lo, 0, v6
	v_and_b32_e32 v2, 7, v13
	v_lshrrev_b32_e32 v19, 16, v3
	v_lshrrev_b32_e32 v6, 8, v7
	v_cndmask_b32_e64 v3, 0, 1, vcc_lo
	v_cmp_lt_i32_e32 vcc_lo, 5, v2
	v_cmp_eq_u32_e64 s0, 3, v2
	v_and_or_b32 v14, 0x8000, v19, v18
	v_lshrrev_b32_e32 v19, 16, v9
	v_and_or_b32 v21, 0xffe, v6, v3
	ds_read2_b32 v[2:3], v17 offset0:96 offset1:144
	s_or_b32 vcc_lo, s0, vcc_lo
	v_mul_f64 v[10:11], v[10:11], s[2:3]
	v_add_co_ci_u32_e32 v12, vcc_lo, 0, v12, vcc_lo
	v_sub_nc_u32_e32 v6, 0x3f1, v20
	v_cmp_ne_u32_e32 vcc_lo, 0, v8
	v_or_b32_e32 v17, 0x1000, v21
	v_med3_i32 v6, v6, 0, 13
	v_cndmask_b32_e64 v8, 0, 1, vcc_lo
	v_cmp_gt_i32_e32 vcc_lo, 31, v15
	v_lshrrev_b32_e32 v23, v6, v17
	v_lshl_or_b32 v8, v8, 9, 0x7c00
	v_cndmask_b32_e32 v22, 0x7c00, v12, vcc_lo
	v_cmp_eq_u32_e32 vcc_lo, 0x40f, v15
	v_mad_u64_u32 v[12:13], null, s8, v38, 0
	v_lshlrev_b32_e32 v18, v6, v23
	v_cndmask_b32_e32 v15, v22, v8, vcc_lo
	s_waitcnt lgkmcnt(0)
	v_lshrrev_b32_e32 v22, 16, v2
	v_and_or_b32 v10, 0x1ff, v11, v10
	v_cmp_ne_u32_e32 vcc_lo, v18, v17
	v_mov_b32_e32 v6, v13
	v_add_nc_u32_e32 v17, 0xfffffc10, v20
	v_mul_f16_sdwa v18, v39, v22 dst_sel:DWORD dst_unused:UNUSED_PAD src0_sel:WORD_1 src1_sel:DWORD
	v_bfe_u32 v20, v11, 20, 11
	v_cndmask_b32_e64 v13, 0, 1, vcc_lo
	v_cmp_ne_u32_e32 vcc_lo, 0, v10
	v_mad_u64_u32 v[8:9], null, s9, v38, v[6:7]
	v_fmac_f16_e32 v18, v39, v2
	v_or_b32_e32 v6, v23, v13
	v_lshl_or_b32 v9, v17, 12, v21
	v_cndmask_b32_e64 v10, 0, 1, vcc_lo
	v_lshrrev_b32_e32 v13, 8, v11
	v_cvt_f32_f16_e32 v18, v18
	v_cmp_gt_i32_e32 vcc_lo, 1, v17
	v_and_or_b32 v15, 0x8000, v19, v15
	v_mul_f16_sdwa v2, v39, v2 dst_sel:DWORD dst_unused:UNUSED_PAD src0_sel:WORD_1 src1_sel:DWORD
	v_and_or_b32 v23, 0xffe, v13, v10
	v_sub_nc_u32_e32 v13, 0x3f1, v20
	v_cndmask_b32_e32 v6, v9, v6, vcc_lo
	v_cvt_f64_f32_e32 v[9:10], v18
	v_fma_f16 v2, v39, v22, -v2
	v_or_b32_e32 v19, 0x1000, v23
	v_med3_i32 v24, v13, 0, 13
	v_and_b32_e32 v18, 7, v6
	v_mov_b32_e32 v13, v8
	v_and_b32_e32 v8, 0xffff, v14
	v_lshrrev_b32_e32 v6, 2, v6
	v_lshrrev_b32_e32 v25, v24, v19
	v_cmp_lt_i32_e32 vcc_lo, 5, v18
	v_cmp_eq_u32_e64 s0, 3, v18
	v_lshl_or_b32 v18, v15, 16, v8
	v_cvt_f32_f16_e32 v2, v2
	v_lshlrev_b32_e32 v8, v24, v25
	v_lshlrev_b64 v[12:13], 2, v[12:13]
	s_or_b32 vcc_lo, s0, vcc_lo
	v_lshrrev_b32_e32 v11, 16, v11
	v_add_co_ci_u32_e32 v6, vcc_lo, 0, v6, vcc_lo
	v_cmp_ne_u32_e32 vcc_lo, v8, v19
	v_cvt_f64_f32_e32 v[14:15], v2
	v_mul_f64 v[8:9], v[9:10], s[2:3]
	v_add_nc_u32_e32 v10, 0xfffffc10, v20
	v_cndmask_b32_e64 v19, 0, 1, vcc_lo
	v_cmp_ne_u32_e32 vcc_lo, 0, v21
	v_lshl_or_b32 v20, v10, 12, v23
	v_or_b32_e32 v19, v25, v19
	v_cndmask_b32_e64 v2, 0, 1, vcc_lo
	v_cmp_gt_i32_e32 vcc_lo, 31, v17
	v_lshl_or_b32 v2, v2, 9, 0x7c00
	v_cndmask_b32_e32 v6, 0x7c00, v6, vcc_lo
	v_cmp_gt_i32_e32 vcc_lo, 1, v10
	v_cndmask_b32_e32 v19, v20, v19, vcc_lo
	v_cmp_eq_u32_e32 vcc_lo, 0x40f, v17
	v_and_or_b32 v8, 0x1ff, v9, v8
	v_lshrrev_b32_e32 v17, 16, v7
	v_and_b32_e32 v20, 7, v19
	v_cndmask_b32_e32 v2, v6, v2, vcc_lo
	v_add_co_u32 v6, vcc_lo, v0, v12
	v_add_co_ci_u32_e32 v7, vcc_lo, v1, v13, vcc_lo
	v_mul_f64 v[12:13], v[14:15], s[2:3]
	v_cmp_ne_u32_e64 s1, 0, v8
	v_cmp_lt_i32_e32 vcc_lo, 5, v20
	v_cmp_eq_u32_e64 s0, 3, v20
	v_lshrrev_b32_e32 v14, 2, v19
	v_and_or_b32 v2, 0x8000, v17, v2
	v_cndmask_b32_e64 v8, 0, 1, s1
	v_lshrrev_b32_e32 v15, 8, v9
	v_bfe_u32 v17, v9, 20, 11
	s_or_b32 vcc_lo, s0, vcc_lo
	v_lshrrev_b32_e32 v19, 16, v3
	v_add_co_ci_u32_e32 v14, vcc_lo, 0, v14, vcc_lo
	v_and_or_b32 v8, 0xffe, v15, v8
	v_sub_nc_u32_e32 v15, 0x3f1, v17
	v_cmp_ne_u32_e32 vcc_lo, 0, v23
	v_mul_f16_sdwa v22, v37, v19 dst_sel:DWORD dst_unused:UNUSED_PAD src0_sel:WORD_1 src1_sel:DWORD
	v_add_nc_u32_e32 v17, 0xfffffc10, v17
	v_or_b32_e32 v21, 0x1000, v8
	v_med3_i32 v15, v15, 0, 13
	v_cndmask_b32_e64 v20, 0, 1, vcc_lo
	v_cmp_gt_i32_e32 vcc_lo, 31, v10
	v_and_or_b32 v12, 0x1ff, v13, v12
	v_fmac_f16_e32 v22, v37, v3
	v_lshrrev_b32_e32 v23, v15, v21
	v_lshl_or_b32 v20, v20, 9, 0x7c00
	v_cndmask_b32_e32 v14, 0x7c00, v14, vcc_lo
	v_cmp_eq_u32_e32 vcc_lo, 0x40f, v10
	v_mul_f16_sdwa v3, v37, v3 dst_sel:DWORD dst_unused:UNUSED_PAD src0_sel:WORD_1 src1_sel:DWORD
	v_and_b32_e32 v2, 0xffff, v2
	global_store_dword v[6:7], v18, off
	v_cndmask_b32_e32 v10, v14, v20, vcc_lo
	v_lshlrev_b32_e32 v14, v15, v23
	v_cmp_ne_u32_e32 vcc_lo, 0, v12
	v_cvt_f32_f16_e32 v15, v22
	v_lshrrev_b32_e32 v20, 8, v13
	v_bfe_u32 v22, v13, 20, 11
	v_and_or_b32 v10, 0x8000, v11, v10
	v_cndmask_b32_e64 v12, 0, 1, vcc_lo
	v_cmp_ne_u32_e32 vcc_lo, v14, v21
	v_cvt_f64_f32_e32 v[14:15], v15
	v_fma_f16 v3, v37, v19, -v3
	v_lshl_or_b32 v18, v10, 16, v2
	v_and_or_b32 v12, 0xffe, v20, v12
	v_cndmask_b32_e64 v21, 0, 1, vcc_lo
	v_sub_nc_u32_e32 v20, 0x3f1, v22
	v_cmp_gt_i32_e32 vcc_lo, 1, v17
	v_cvt_f32_f16_e32 v6, v3
	v_or_b32_e32 v24, 0x1000, v12
	v_or_b32_e32 v21, v23, v21
	v_lshl_or_b32 v23, v17, 12, v8
	v_med3_i32 v20, v20, 0, 13
	v_cvt_f64_f32_e32 v[6:7], v6
	v_lshrrev_b32_e32 v13, 16, v13
	v_cndmask_b32_e32 v21, v23, v21, vcc_lo
	v_lshrrev_b32_e32 v11, v20, v24
	v_and_b32_e32 v19, 7, v21
	v_lshlrev_b32_e32 v10, v20, v11
	v_mul_f64 v[2:3], v[14:15], s[2:3]
	v_lshrrev_b32_e32 v15, 2, v21
	v_add_nc_u32_e32 v14, 0xfffffc10, v22
	v_cmp_lt_i32_e32 vcc_lo, 5, v19
	v_cmp_eq_u32_e64 s0, 3, v19
	v_cmp_ne_u32_e64 s1, v10, v24
	s_or_b32 vcc_lo, s0, vcc_lo
	v_cndmask_b32_e64 v10, 0, 1, s1
	v_add_co_ci_u32_e32 v15, vcc_lo, 0, v15, vcc_lo
	v_cmp_ne_u32_e32 vcc_lo, 0, v8
	v_mul_f64 v[6:7], v[6:7], s[2:3]
	v_or_b32_e32 v10, v11, v10
	v_lshl_or_b32 v11, v14, 12, v12
	v_add_co_u32 v4, s1, v4, s7
	v_cndmask_b32_e64 v8, 0, 1, vcc_lo
	v_cmp_gt_i32_e32 vcc_lo, 1, v14
	v_add_co_ci_u32_e64 v5, s1, s6, v5, s1
	v_and_or_b32 v2, 0x1ff, v3, v2
	v_lshl_or_b32 v8, v8, 9, 0x7c00
	v_cndmask_b32_e32 v19, v11, v10, vcc_lo
	v_cmp_gt_i32_e32 vcc_lo, 31, v17
	v_lshrrev_b32_e32 v21, 8, v3
	v_bfe_u32 v22, v3, 20, 11
	ds_read2_b32 v[10:11], v16 offset0:64 offset1:112
	v_and_b32_e32 v20, 7, v19
	v_cndmask_b32_e32 v15, 0x7c00, v15, vcc_lo
	v_cmp_ne_u32_e32 vcc_lo, 0, v2
	global_store_dword v[4:5], v18, off
	v_lshrrev_b32_e32 v18, 16, v3
	v_cmp_eq_u32_e64 s0, 3, v20
	v_and_or_b32 v6, 0x1ff, v7, v6
	v_cndmask_b32_e64 v2, 0, 1, vcc_lo
	v_cmp_eq_u32_e32 vcc_lo, 0x40f, v17
	v_lshrrev_b32_e32 v17, 16, v9
	v_lshrrev_b32_e32 v9, 2, v19
	;; [unrolled: 1-line block ×3, first 2 shown]
	v_and_or_b32 v2, 0xffe, v21, v2
	v_cndmask_b32_e32 v15, v15, v8, vcc_lo
	v_cmp_lt_i32_e32 vcc_lo, 5, v20
	v_sub_nc_u32_e32 v8, 0x3f1, v22
	v_bfe_u32 v25, v7, 20, 11
	v_or_b32_e32 v19, 0x1000, v2
	v_and_or_b32 v15, 0x8000, v17, v15
	s_or_b32 vcc_lo, s0, vcc_lo
	v_med3_i32 v8, v8, 0, 13
	v_add_co_ci_u32_e32 v9, vcc_lo, 0, v9, vcc_lo
	v_cmp_ne_u32_e32 vcc_lo, 0, v12
	s_waitcnt lgkmcnt(0)
	v_lshrrev_b32_e32 v20, 16, v10
	v_lshrrev_b32_e32 v21, v8, v19
	;; [unrolled: 1-line block ×3, first 2 shown]
	v_and_b32_e32 v15, 0xffff, v15
	v_cndmask_b32_e64 v12, 0, 1, vcc_lo
	v_cmp_gt_i32_e32 vcc_lo, 31, v14
	v_lshlrev_b32_e32 v8, v8, v21
	v_lshl_or_b32 v12, v12, 9, 0x7c00
	v_cndmask_b32_e32 v23, 0x7c00, v9, vcc_lo
	v_cmp_ne_u32_e32 vcc_lo, 0, v6
	v_mul_f16_sdwa v9, v36, v20 dst_sel:DWORD dst_unused:UNUSED_PAD src0_sel:WORD_1 src1_sel:DWORD
	v_cndmask_b32_e64 v6, 0, 1, vcc_lo
	v_cmp_ne_u32_e32 vcc_lo, v8, v19
	v_add_nc_u32_e32 v19, 0xfffffc10, v22
	v_sub_nc_u32_e32 v22, 0x3f1, v25
	v_fmac_f16_e32 v9, v36, v10
	v_and_or_b32 v6, 0xffe, v24, v6
	v_cndmask_b32_e64 v8, 0, 1, vcc_lo
	v_cmp_eq_u32_e32 vcc_lo, 0x40f, v14
	v_lshl_or_b32 v24, v19, 12, v2
	v_med3_i32 v22, v22, 0, 13
	v_or_b32_e32 v26, 0x1000, v6
	v_or_b32_e32 v21, v21, v8
	v_cndmask_b32_e32 v12, v23, v12, vcc_lo
	v_cmp_gt_i32_e32 vcc_lo, 1, v19
	v_cvt_f32_f16_e32 v9, v9
	v_mul_f16_sdwa v10, v36, v10 dst_sel:DWORD dst_unused:UNUSED_PAD src0_sel:WORD_1 src1_sel:DWORD
	v_and_or_b32 v23, 0x8000, v13, v12
	v_cndmask_b32_e32 v14, v24, v21, vcc_lo
	v_lshrrev_b32_e32 v21, v22, v26
	v_cvt_f64_f32_e32 v[8:9], v9
	v_fma_f16 v10, v36, v20, -v10
	v_add_nc_u32_e32 v20, 0xfffffc10, v25
	v_and_b32_e32 v17, 7, v14
	v_lshlrev_b32_e32 v22, v22, v21
	v_lshrrev_b32_e32 v14, 2, v14
	v_cvt_f32_f16_e32 v10, v10
	v_lshl_or_b32 v15, v23, 16, v15
	v_cmp_lt_i32_e32 vcc_lo, 5, v17
	v_cmp_ne_u32_e64 s0, v22, v26
	v_cndmask_b32_e64 v12, 0, 1, s0
	v_cmp_eq_u32_e64 s0, 3, v17
	v_or_b32_e32 v17, v21, v12
	s_or_b32 vcc_lo, s0, vcc_lo
	v_cvt_f64_f32_e32 v[12:13], v10
	v_add_co_ci_u32_e32 v14, vcc_lo, 0, v14, vcc_lo
	v_mul_f64 v[8:9], v[8:9], s[2:3]
	v_cmp_ne_u32_e32 vcc_lo, 0, v2
	v_lshl_or_b32 v10, v20, 12, v6
	v_cndmask_b32_e64 v2, 0, 1, vcc_lo
	v_cmp_gt_i32_e32 vcc_lo, 1, v20
	v_lshl_or_b32 v2, v2, 9, 0x7c00
	v_cndmask_b32_e32 v10, v10, v17, vcc_lo
	v_cmp_gt_i32_e32 vcc_lo, 31, v19
	v_and_b32_e32 v17, 7, v10
	v_cndmask_b32_e32 v14, 0x7c00, v14, vcc_lo
	v_cmp_eq_u32_e32 vcc_lo, 0x40f, v19
	v_lshrrev_b32_e32 v10, 2, v10
	v_lshrrev_b32_e32 v19, 16, v11
	v_cmp_eq_u32_e64 s0, 3, v17
	v_and_or_b32 v8, 0x1ff, v9, v8
	v_cndmask_b32_e32 v14, v14, v2, vcc_lo
	v_cmp_lt_i32_e32 vcc_lo, 5, v17
	v_mul_f64 v[2:3], v[12:13], s[2:3]
	v_lshrrev_b32_e32 v12, 8, v9
	v_cmp_ne_u32_e64 s1, 0, v8
	v_bfe_u32 v13, v9, 20, 11
	s_or_b32 vcc_lo, s0, vcc_lo
	v_and_or_b32 v14, 0x8000, v18, v14
	v_add_co_ci_u32_e32 v10, vcc_lo, 0, v10, vcc_lo
	v_cmp_ne_u32_e32 vcc_lo, 0, v6
	v_cndmask_b32_e64 v8, 0, 1, s1
	v_add_nc_u32_e32 v21, 0xfffffc10, v13
	v_cndmask_b32_e64 v6, 0, 1, vcc_lo
	v_cmp_gt_i32_e32 vcc_lo, 31, v20
	v_and_or_b32 v8, 0xffe, v12, v8
	v_sub_nc_u32_e32 v12, 0x3f1, v13
	v_and_b32_e32 v13, 0xffff, v14
	v_lshl_or_b32 v6, v6, 9, 0x7c00
	v_cndmask_b32_e32 v10, 0x7c00, v10, vcc_lo
	v_cmp_eq_u32_e32 vcc_lo, 0x40f, v20
	v_or_b32_e32 v17, 0x1000, v8
	v_med3_i32 v12, v12, 0, 13
	v_and_or_b32 v2, 0x1ff, v3, v2
	v_cndmask_b32_e32 v6, v10, v6, vcc_lo
	v_mul_f16_sdwa v10, v35, v19 dst_sel:DWORD dst_unused:UNUSED_PAD src0_sel:WORD_1 src1_sel:DWORD
	v_lshrrev_b32_e32 v20, v12, v17
	v_cmp_ne_u32_e32 vcc_lo, 0, v2
	v_and_or_b32 v18, 0x8000, v7, v6
	v_fmac_f16_e32 v10, v35, v11
	v_lshlrev_b32_e32 v6, v12, v20
	v_cndmask_b32_e64 v2, 0, 1, vcc_lo
	v_lshrrev_b32_e32 v12, 8, v3
	v_lshl_or_b32 v18, v18, 16, v13
	v_cvt_f32_f16_e32 v7, v10
	v_cmp_ne_u32_e32 vcc_lo, v6, v17
	v_bfe_u32 v10, v3, 20, 11
	v_and_or_b32 v2, 0xffe, v12, v2
	v_lshrrev_b32_e32 v3, 16, v3
	v_cvt_f64_f32_e32 v[6:7], v7
	v_cndmask_b32_e64 v17, 0, 1, vcc_lo
	v_add_co_u32 v4, vcc_lo, v4, s5
	v_sub_nc_u32_e32 v12, 0x3f1, v10
	v_add_co_ci_u32_e32 v5, vcc_lo, s4, v5, vcc_lo
	v_or_b32_e32 v14, v20, v17
	v_lshl_or_b32 v17, v21, 12, v8
	v_cmp_gt_i32_e32 vcc_lo, 1, v21
	v_or_b32_e32 v20, 0x1000, v2
	v_med3_i32 v22, v12, 0, 13
	global_store_dword v[4:5], v15, off
	v_cndmask_b32_e32 v14, v17, v14, vcc_lo
	v_add_co_u32 v12, vcc_lo, v4, s5
	v_lshrrev_b32_e32 v17, v22, v20
	v_add_co_ci_u32_e32 v13, vcc_lo, s4, v5, vcc_lo
	v_and_b32_e32 v23, 7, v14
	v_mul_f64 v[4:5], v[6:7], s[2:3]
	v_lshlrev_b32_e32 v6, v22, v17
	v_lshrrev_b32_e32 v7, 2, v14
	v_cmp_lt_i32_e32 vcc_lo, 5, v23
	v_cmp_eq_u32_e64 s0, 3, v23
	global_store_dword v[12:13], v18, off
	v_cmp_ne_u32_e64 s1, v6, v20
	v_add_nc_u32_e32 v18, 0xfffffc10, v10
	v_mul_f16_sdwa v10, v35, v11 dst_sel:DWORD dst_unused:UNUSED_PAD src0_sel:WORD_1 src1_sel:DWORD
	s_or_b32 vcc_lo, s0, vcc_lo
	v_add_co_ci_u32_e32 v11, vcc_lo, 0, v7, vcc_lo
	v_cndmask_b32_e64 v6, 0, 1, s1
	v_cmp_ne_u32_e32 vcc_lo, 0, v8
	v_lshl_or_b32 v7, v18, 12, v2
	v_fma_f16 v10, v35, v19, -v10
	v_or_b32_e32 v6, v17, v6
	v_cndmask_b32_e64 v8, 0, 1, vcc_lo
	v_cmp_gt_i32_e32 vcc_lo, 1, v18
	v_cvt_f32_f16_e32 v10, v10
	v_and_or_b32 v4, 0x1ff, v5, v4
	v_lshrrev_b32_e32 v17, 8, v5
	v_bfe_u32 v19, v5, 20, 11
	v_cndmask_b32_e32 v14, v7, v6, vcc_lo
	v_cmp_gt_i32_e32 vcc_lo, 31, v21
	ds_read2_b32 v[6:7], v16 offset0:160 offset1:208
	v_lshl_or_b32 v8, v8, 9, 0x7c00
	v_lshrrev_b32_e32 v5, 16, v5
	v_and_b32_e32 v16, 7, v14
	v_cndmask_b32_e32 v15, 0x7c00, v11, vcc_lo
	v_cvt_f64_f32_e32 v[10:11], v10
	v_cmp_ne_u32_e32 vcc_lo, 0, v4
	v_cmp_eq_u32_e64 s0, 3, v16
	v_cndmask_b32_e64 v4, 0, 1, vcc_lo
	v_cmp_eq_u32_e32 vcc_lo, 0x40f, v21
	v_lshrrev_b32_e32 v21, 16, v9
	v_and_or_b32 v17, 0xffe, v17, v4
	v_sub_nc_u32_e32 v4, 0x3f1, v19
	v_cndmask_b32_e32 v20, v15, v8, vcc_lo
	v_cmp_lt_i32_e32 vcc_lo, 5, v16
	v_lshrrev_b32_e32 v8, 2, v14
	v_or_b32_e32 v14, 0x1000, v17
	v_med3_i32 v4, v4, 0, 13
	s_waitcnt lgkmcnt(0)
	v_lshrrev_b32_e32 v16, 16, v6
	s_or_b32 vcc_lo, s0, vcc_lo
	v_add_nc_u32_e32 v19, 0xfffffc10, v19
	v_add_co_ci_u32_e32 v15, vcc_lo, 0, v8, vcc_lo
	v_mul_f64 v[8:9], v[10:11], s[2:3]
	v_lshrrev_b32_e32 v23, v4, v14
	v_cmp_ne_u32_e32 vcc_lo, 0, v2
	v_mul_f16_sdwa v22, v34, v16 dst_sel:DWORD dst_unused:UNUSED_PAD src0_sel:WORD_1 src1_sel:DWORD
	v_mad_u64_u32 v[10:11], null, s8, v33, 0
	v_lshlrev_b32_e32 v4, v4, v23
	v_cndmask_b32_e64 v2, 0, 1, vcc_lo
	v_cmp_gt_i32_e32 vcc_lo, 31, v18
	v_fmac_f16_e32 v22, v34, v6
	v_mul_f16_sdwa v6, v34, v6 dst_sel:DWORD dst_unused:UNUSED_PAD src0_sel:WORD_1 src1_sel:DWORD
	v_lshl_or_b32 v2, v2, 9, 0x7c00
	v_cndmask_b32_e32 v24, 0x7c00, v15, vcc_lo
	v_cmp_ne_u32_e32 vcc_lo, v4, v14
	v_cvt_f32_f16_e32 v15, v22
	v_fma_f16 v6, v34, v16, -v6
	v_cndmask_b32_e64 v4, 0, 1, vcc_lo
	v_cmp_eq_u32_e32 vcc_lo, 0x40f, v18
	v_cvt_f64_f32_e32 v[14:15], v15
	v_and_or_b32 v18, 0x8000, v21, v20
	v_lshl_or_b32 v20, v19, 12, v17
	v_or_b32_e32 v4, v23, v4
	v_cndmask_b32_e32 v2, v24, v2, vcc_lo
	v_and_or_b32 v8, 0x1ff, v9, v8
	v_cmp_gt_i32_e32 vcc_lo, 1, v19
	v_bfe_u32 v22, v9, 20, 11
	v_and_b32_e32 v18, 0xffff, v18
	v_and_or_b32 v21, 0x8000, v3, v2
	v_mov_b32_e32 v2, v11
	v_cndmask_b32_e32 v20, v20, v4, vcc_lo
	v_cmp_ne_u32_e32 vcc_lo, 0, v8
	v_lshrrev_b32_e32 v8, 8, v9
	v_sub_nc_u32_e32 v23, 0x3f1, v22
	v_mad_u64_u32 v[2:3], null, s9, v33, v[2:3]
	v_cndmask_b32_e64 v4, 0, 1, vcc_lo
	v_and_b32_e32 v11, 7, v20
	v_lshl_or_b32 v18, v21, 16, v18
	v_lshrrev_b32_e32 v9, 16, v9
	v_and_or_b32 v8, 0xffe, v8, v4
	v_cmp_lt_i32_e32 vcc_lo, 5, v11
	v_cmp_eq_u32_e64 s0, 3, v11
	v_mul_f64 v[3:4], v[14:15], s[2:3]
	v_mov_b32_e32 v11, v2
	v_lshrrev_b32_e32 v2, 2, v20
	v_or_b32_e32 v14, 0x1000, v8
	v_med3_i32 v15, v23, 0, 13
	s_or_b32 vcc_lo, s0, vcc_lo
	v_lshlrev_b64 v[10:11], 2, v[10:11]
	v_add_co_ci_u32_e32 v2, vcc_lo, 0, v2, vcc_lo
	v_lshrrev_b32_e32 v20, v15, v14
	v_cmp_ne_u32_e32 vcc_lo, 0, v17
	v_lshlrev_b32_e32 v15, v15, v20
	v_cndmask_b32_e64 v17, 0, 1, vcc_lo
	v_cmp_gt_i32_e32 vcc_lo, 31, v19
	v_lshl_or_b32 v17, v17, 9, 0x7c00
	v_cndmask_b32_e32 v2, 0x7c00, v2, vcc_lo
	v_cmp_ne_u32_e32 vcc_lo, v15, v14
	v_and_or_b32 v3, 0x1ff, v4, v3
	v_add_nc_u32_e32 v15, 0xfffffc10, v22
	v_cndmask_b32_e64 v14, 0, 1, vcc_lo
	v_cmp_eq_u32_e32 vcc_lo, 0x40f, v19
	v_lshrrev_b32_e32 v19, 8, v4
	v_or_b32_e32 v14, v20, v14
	v_cndmask_b32_e32 v16, v2, v17, vcc_lo
	v_cmp_ne_u32_e32 vcc_lo, 0, v3
	v_cvt_f32_f16_e32 v2, v6
	v_lshl_or_b32 v17, v15, 12, v8
	v_bfe_u32 v20, v4, 20, 11
	v_lshrrev_b32_e32 v4, 16, v4
	v_cndmask_b32_e64 v6, 0, 1, vcc_lo
	v_cmp_gt_i32_e32 vcc_lo, 1, v15
	v_cvt_f64_f32_e32 v[2:3], v2
	v_cndmask_b32_e32 v14, v17, v14, vcc_lo
	v_and_or_b32 v17, 0xffe, v19, v6
	v_sub_nc_u32_e32 v6, 0x3f1, v20
	v_lshrrev_b32_e32 v19, 16, v7
	v_add_co_u32 v0, vcc_lo, v0, v10
	v_or_b32_e32 v22, 0x1000, v17
	v_med3_i32 v6, v6, 0, 13
	v_and_b32_e32 v21, 7, v14
	v_mul_f16_sdwa v23, v32, v19 dst_sel:DWORD dst_unused:UNUSED_PAD src0_sel:WORD_1 src1_sel:DWORD
	v_add_co_ci_u32_e32 v1, vcc_lo, v1, v11, vcc_lo
	v_lshrrev_b32_e32 v11, v6, v22
	v_cmp_lt_i32_e32 vcc_lo, 5, v21
	v_fmac_f16_e32 v23, v32, v7
	v_cmp_eq_u32_e64 s0, 3, v21
	v_and_or_b32 v10, 0x8000, v5, v16
	v_lshrrev_b32_e32 v5, 2, v14
	v_lshlrev_b32_e32 v14, v6, v11
	v_cvt_f32_f16_e32 v6, v23
	s_or_b32 vcc_lo, s0, vcc_lo
	v_mul_f64 v[2:3], v[2:3], s[2:3]
	v_add_co_ci_u32_e32 v16, vcc_lo, 0, v5, vcc_lo
	v_cmp_ne_u32_e32 vcc_lo, v14, v22
	v_cvt_f64_f32_e32 v[5:6], v6
	v_add_nc_u32_e32 v20, 0xfffffc10, v20
	v_mul_f16_sdwa v7, v32, v7 dst_sel:DWORD dst_unused:UNUSED_PAD src0_sel:WORD_1 src1_sel:DWORD
	v_and_b32_e32 v10, 0xffff, v10
	v_cndmask_b32_e64 v14, 0, 1, vcc_lo
	v_cmp_ne_u32_e32 vcc_lo, 0, v8
	v_fma_f16 v7, v32, v19, -v7
	v_or_b32_e32 v11, v11, v14
	v_cndmask_b32_e64 v8, 0, 1, vcc_lo
	v_cmp_gt_i32_e32 vcc_lo, 31, v15
	v_lshl_or_b32 v14, v20, 12, v17
	v_cvt_f32_f16_e32 v7, v7
	v_lshl_or_b32 v8, v8, 9, 0x7c00
	v_cndmask_b32_e32 v16, 0x7c00, v16, vcc_lo
	v_cmp_gt_i32_e32 vcc_lo, 1, v20
	v_and_or_b32 v2, 0x1ff, v3, v2
	v_bfe_u32 v19, v3, 20, 11
	v_cndmask_b32_e32 v11, v14, v11, vcc_lo
	v_cmp_eq_u32_e32 vcc_lo, 0x40f, v15
	v_mul_f64 v[5:6], v[5:6], s[2:3]
	v_and_b32_e32 v15, 7, v11
	v_cndmask_b32_e32 v14, v16, v8, vcc_lo
	v_cvt_f64_f32_e32 v[7:8], v7
	v_cmp_ne_u32_e32 vcc_lo, 0, v2
	v_lshrrev_b32_e32 v16, 8, v3
	v_cmp_eq_u32_e64 s0, 3, v15
	v_and_or_b32 v9, 0x8000, v9, v14
	v_sub_nc_u32_e32 v14, 0x3f1, v19
	v_cndmask_b32_e64 v2, 0, 1, vcc_lo
	v_cmp_lt_i32_e32 vcc_lo, 5, v15
	v_lshrrev_b32_e32 v3, 16, v3
	v_lshl_or_b32 v9, v9, 16, v10
	v_lshrrev_b32_e32 v10, 2, v11
	v_and_or_b32 v2, 0xffe, v16, v2
	s_or_b32 vcc_lo, s0, vcc_lo
	v_med3_i32 v14, v14, 0, 13
	v_add_co_ci_u32_e32 v10, vcc_lo, 0, v10, vcc_lo
	v_or_b32_e32 v11, 0x1000, v2
	v_cmp_ne_u32_e32 vcc_lo, 0, v17
	v_and_or_b32 v5, 0x1ff, v6, v5
	v_lshrrev_b32_e32 v17, 8, v6
	v_bfe_u32 v21, v6, 20, 11
	v_lshrrev_b32_e32 v16, v14, v11
	v_cndmask_b32_e64 v15, 0, 1, vcc_lo
	v_cmp_gt_i32_e32 vcc_lo, 31, v20
	v_mul_f64 v[7:8], v[7:8], s[2:3]
	v_lshrrev_b32_e32 v6, 16, v6
	v_lshlrev_b32_e32 v14, v14, v16
	v_lshl_or_b32 v15, v15, 9, 0x7c00
	v_cndmask_b32_e32 v10, 0x7c00, v10, vcc_lo
	v_cmp_ne_u32_e32 vcc_lo, 0, v5
	v_cndmask_b32_e64 v5, 0, 1, vcc_lo
	v_cmp_ne_u32_e32 vcc_lo, v14, v11
	v_add_nc_u32_e32 v14, 0xfffffc10, v19
	v_and_or_b32 v5, 0xffe, v17, v5
	v_cndmask_b32_e64 v11, 0, 1, vcc_lo
	v_sub_nc_u32_e32 v17, 0x3f1, v21
	v_cmp_eq_u32_e32 vcc_lo, 0x40f, v20
	v_or_b32_e32 v11, v16, v11
	v_or_b32_e32 v16, 0x1000, v5
	v_cndmask_b32_e32 v10, v10, v15, vcc_lo
	v_lshl_or_b32 v15, v14, 12, v2
	v_med3_i32 v17, v17, 0, 13
	v_cmp_gt_i32_e32 vcc_lo, 1, v14
	v_and_or_b32 v7, 0x1ff, v8, v7
	v_lshrrev_b32_e32 v19, 8, v8
	v_bfe_u32 v20, v8, 20, 11
	v_and_or_b32 v4, 0x8000, v4, v10
	v_cndmask_b32_e32 v11, v15, v11, vcc_lo
	v_lshrrev_b32_e32 v15, v17, v16
	v_cmp_ne_u32_e32 vcc_lo, 0, v7
	v_sub_nc_u32_e32 v10, 0x3f1, v20
	v_and_b32_e32 v4, 0xffff, v4
	v_and_b32_e32 v22, 7, v11
	v_lshlrev_b32_e32 v17, v17, v15
	v_cndmask_b32_e64 v7, 0, 1, vcc_lo
	v_lshrrev_b32_e32 v11, 2, v11
	v_med3_i32 v10, v10, 0, 13
	v_cmp_lt_i32_e32 vcc_lo, 5, v22
	v_cmp_ne_u32_e64 s0, v17, v16
	v_and_or_b32 v7, 0xffe, v19, v7
	v_add_nc_u32_e32 v19, 0xfffffc10, v21
	v_cndmask_b32_e64 v16, 0, 1, s0
	v_cmp_eq_u32_e64 s0, 3, v22
	v_or_b32_e32 v17, 0x1000, v7
	v_lshl_or_b32 v21, v19, 12, v5
	v_or_b32_e32 v15, v15, v16
	s_or_b32 vcc_lo, s0, vcc_lo
	v_lshrrev_b32_e32 v16, v10, v17
	v_add_co_ci_u32_e32 v11, vcc_lo, 0, v11, vcc_lo
	v_cmp_gt_i32_e32 vcc_lo, 1, v19
	v_lshlrev_b32_e32 v10, v10, v16
	v_cndmask_b32_e32 v15, v21, v15, vcc_lo
	v_cmp_ne_u32_e32 vcc_lo, 0, v2
	v_cndmask_b32_e64 v2, 0, 1, vcc_lo
	v_cmp_ne_u32_e32 vcc_lo, v10, v17
	v_add_nc_u32_e32 v17, 0xfffffc10, v20
	v_and_b32_e32 v20, 7, v15
	v_lshl_or_b32 v2, v2, 9, 0x7c00
	v_cndmask_b32_e64 v10, 0, 1, vcc_lo
	v_cmp_gt_i32_e32 vcc_lo, 31, v14
	v_cmp_gt_i32_e64 s1, 1, v17
	v_cmp_eq_u32_e64 s0, 3, v20
	v_or_b32_e32 v10, v16, v10
	v_lshl_or_b32 v16, v17, 12, v7
	v_cndmask_b32_e32 v11, 0x7c00, v11, vcc_lo
	v_cmp_lt_i32_e32 vcc_lo, 5, v20
	v_cndmask_b32_e64 v10, v16, v10, s1
	v_cmp_eq_u32_e64 s1, 0x40f, v14
	s_or_b32 vcc_lo, s0, vcc_lo
	v_and_b32_e32 v14, 7, v10
	v_cndmask_b32_e64 v2, v11, v2, s1
	v_lshrrev_b32_e32 v11, 2, v15
	v_lshrrev_b32_e32 v10, 2, v10
	v_cmp_gt_i32_e64 s1, 31, v19
	v_cmp_eq_u32_e64 s0, 3, v14
	v_add_co_ci_u32_e32 v11, vcc_lo, 0, v11, vcc_lo
	v_cmp_ne_u32_e32 vcc_lo, 0, v5
	v_cndmask_b32_e64 v11, 0x7c00, v11, s1
	v_cndmask_b32_e64 v5, 0, 1, vcc_lo
	v_cmp_lt_i32_e32 vcc_lo, 5, v14
	v_lshl_or_b32 v5, v5, 9, 0x7c00
	s_or_b32 vcc_lo, s0, vcc_lo
	v_add_co_ci_u32_e32 v10, vcc_lo, 0, v10, vcc_lo
	v_cmp_ne_u32_e32 vcc_lo, 0, v7
	v_cndmask_b32_e64 v7, 0, 1, vcc_lo
	v_cmp_eq_u32_e32 vcc_lo, 0x40f, v19
	v_lshl_or_b32 v7, v7, 9, 0x7c00
	v_cndmask_b32_e32 v5, v11, v5, vcc_lo
	v_cmp_gt_i32_e32 vcc_lo, 31, v17
	v_and_or_b32 v11, 0x8000, v3, v2
	v_and_or_b32 v5, 0x8000, v6, v5
	v_cndmask_b32_e32 v10, 0x7c00, v10, vcc_lo
	v_cmp_eq_u32_e32 vcc_lo, 0x40f, v17
	v_cndmask_b32_e32 v6, v10, v7, vcc_lo
	v_lshrrev_b32_e32 v7, 16, v8
	v_add_co_u32 v2, vcc_lo, v12, s7
	v_add_co_ci_u32_e32 v3, vcc_lo, s6, v13, vcc_lo
	v_lshl_or_b32 v8, v11, 16, v4
	v_and_or_b32 v6, 0x8000, v7, v6
	v_and_b32_e32 v7, 0xffff, v5
	v_add_co_u32 v4, vcc_lo, v2, s5
	v_add_co_ci_u32_e32 v5, vcc_lo, s4, v3, vcc_lo
	v_lshl_or_b32 v10, v6, 16, v7
	v_add_co_u32 v6, vcc_lo, v4, s5
	v_add_co_ci_u32_e32 v7, vcc_lo, s4, v5, vcc_lo
	global_store_dword v[0:1], v18, off
	global_store_dword v[2:3], v9, off
	;; [unrolled: 1-line block ×4, first 2 shown]
.LBB0_10:
	s_endpgm
	.section	.rodata,"a",@progbits
	.p2align	6, 0x0
	.amdhsa_kernel bluestein_single_back_len768_dim1_half_op_CI_CI
		.amdhsa_group_segment_fixed_size 3072
		.amdhsa_private_segment_fixed_size 0
		.amdhsa_kernarg_size 104
		.amdhsa_user_sgpr_count 6
		.amdhsa_user_sgpr_private_segment_buffer 1
		.amdhsa_user_sgpr_dispatch_ptr 0
		.amdhsa_user_sgpr_queue_ptr 0
		.amdhsa_user_sgpr_kernarg_segment_ptr 1
		.amdhsa_user_sgpr_dispatch_id 0
		.amdhsa_user_sgpr_flat_scratch_init 0
		.amdhsa_user_sgpr_private_segment_size 0
		.amdhsa_wavefront_size32 1
		.amdhsa_uses_dynamic_stack 0
		.amdhsa_system_sgpr_private_segment_wavefront_offset 0
		.amdhsa_system_sgpr_workgroup_id_x 1
		.amdhsa_system_sgpr_workgroup_id_y 0
		.amdhsa_system_sgpr_workgroup_id_z 0
		.amdhsa_system_sgpr_workgroup_info 0
		.amdhsa_system_vgpr_workitem_id 0
		.amdhsa_next_free_vgpr 120
		.amdhsa_next_free_sgpr 20
		.amdhsa_reserve_vcc 1
		.amdhsa_reserve_flat_scratch 0
		.amdhsa_float_round_mode_32 0
		.amdhsa_float_round_mode_16_64 0
		.amdhsa_float_denorm_mode_32 3
		.amdhsa_float_denorm_mode_16_64 3
		.amdhsa_dx10_clamp 1
		.amdhsa_ieee_mode 1
		.amdhsa_fp16_overflow 0
		.amdhsa_workgroup_processor_mode 1
		.amdhsa_memory_ordered 1
		.amdhsa_forward_progress 0
		.amdhsa_shared_vgpr_count 0
		.amdhsa_exception_fp_ieee_invalid_op 0
		.amdhsa_exception_fp_denorm_src 0
		.amdhsa_exception_fp_ieee_div_zero 0
		.amdhsa_exception_fp_ieee_overflow 0
		.amdhsa_exception_fp_ieee_underflow 0
		.amdhsa_exception_fp_ieee_inexact 0
		.amdhsa_exception_int_div_zero 0
	.end_amdhsa_kernel
	.text
.Lfunc_end0:
	.size	bluestein_single_back_len768_dim1_half_op_CI_CI, .Lfunc_end0-bluestein_single_back_len768_dim1_half_op_CI_CI
                                        ; -- End function
	.section	.AMDGPU.csdata,"",@progbits
; Kernel info:
; codeLenInByte = 20340
; NumSgprs: 22
; NumVgprs: 120
; ScratchSize: 0
; MemoryBound: 0
; FloatMode: 240
; IeeeMode: 1
; LDSByteSize: 3072 bytes/workgroup (compile time only)
; SGPRBlocks: 2
; VGPRBlocks: 14
; NumSGPRsForWavesPerEU: 22
; NumVGPRsForWavesPerEU: 120
; Occupancy: 8
; WaveLimiterHint : 1
; COMPUTE_PGM_RSRC2:SCRATCH_EN: 0
; COMPUTE_PGM_RSRC2:USER_SGPR: 6
; COMPUTE_PGM_RSRC2:TRAP_HANDLER: 0
; COMPUTE_PGM_RSRC2:TGID_X_EN: 1
; COMPUTE_PGM_RSRC2:TGID_Y_EN: 0
; COMPUTE_PGM_RSRC2:TGID_Z_EN: 0
; COMPUTE_PGM_RSRC2:TIDIG_COMP_CNT: 0
	.text
	.p2alignl 6, 3214868480
	.fill 48, 4, 3214868480
	.type	__hip_cuid_b01918e2dad505a,@object ; @__hip_cuid_b01918e2dad505a
	.section	.bss,"aw",@nobits
	.globl	__hip_cuid_b01918e2dad505a
__hip_cuid_b01918e2dad505a:
	.byte	0                               ; 0x0
	.size	__hip_cuid_b01918e2dad505a, 1

	.ident	"AMD clang version 19.0.0git (https://github.com/RadeonOpenCompute/llvm-project roc-6.4.0 25133 c7fe45cf4b819c5991fe208aaa96edf142730f1d)"
	.section	".note.GNU-stack","",@progbits
	.addrsig
	.addrsig_sym __hip_cuid_b01918e2dad505a
	.amdgpu_metadata
---
amdhsa.kernels:
  - .args:
      - .actual_access:  read_only
        .address_space:  global
        .offset:         0
        .size:           8
        .value_kind:     global_buffer
      - .actual_access:  read_only
        .address_space:  global
        .offset:         8
        .size:           8
        .value_kind:     global_buffer
      - .actual_access:  read_only
        .address_space:  global
        .offset:         16
        .size:           8
        .value_kind:     global_buffer
      - .actual_access:  read_only
        .address_space:  global
        .offset:         24
        .size:           8
        .value_kind:     global_buffer
      - .actual_access:  read_only
        .address_space:  global
        .offset:         32
        .size:           8
        .value_kind:     global_buffer
      - .offset:         40
        .size:           8
        .value_kind:     by_value
      - .address_space:  global
        .offset:         48
        .size:           8
        .value_kind:     global_buffer
      - .address_space:  global
        .offset:         56
        .size:           8
        .value_kind:     global_buffer
      - .address_space:  global
        .offset:         64
        .size:           8
        .value_kind:     global_buffer
      - .address_space:  global
        .offset:         72
        .size:           8
        .value_kind:     global_buffer
      - .offset:         80
        .size:           4
        .value_kind:     by_value
      - .address_space:  global
        .offset:         88
        .size:           8
        .value_kind:     global_buffer
      - .address_space:  global
        .offset:         96
        .size:           8
        .value_kind:     global_buffer
    .group_segment_fixed_size: 3072
    .kernarg_segment_align: 8
    .kernarg_segment_size: 104
    .language:       OpenCL C
    .language_version:
      - 2
      - 0
    .max_flat_workgroup_size: 48
    .name:           bluestein_single_back_len768_dim1_half_op_CI_CI
    .private_segment_fixed_size: 0
    .sgpr_count:     22
    .sgpr_spill_count: 0
    .symbol:         bluestein_single_back_len768_dim1_half_op_CI_CI.kd
    .uniform_work_group_size: 1
    .uses_dynamic_stack: false
    .vgpr_count:     120
    .vgpr_spill_count: 0
    .wavefront_size: 32
    .workgroup_processor_mode: 1
amdhsa.target:   amdgcn-amd-amdhsa--gfx1030
amdhsa.version:
  - 1
  - 2
...

	.end_amdgpu_metadata
